;; amdgpu-corpus repo=ROCm/rocFFT kind=compiled arch=gfx906 opt=O3
	.text
	.amdgcn_target "amdgcn-amd-amdhsa--gfx906"
	.amdhsa_code_object_version 6
	.protected	bluestein_single_back_len630_dim1_dp_op_CI_CI ; -- Begin function bluestein_single_back_len630_dim1_dp_op_CI_CI
	.globl	bluestein_single_back_len630_dim1_dp_op_CI_CI
	.p2align	8
	.type	bluestein_single_back_len630_dim1_dp_op_CI_CI,@function
bluestein_single_back_len630_dim1_dp_op_CI_CI: ; @bluestein_single_back_len630_dim1_dp_op_CI_CI
; %bb.0:
	s_load_dwordx4 s[12:15], s[4:5], 0x28
	s_mov_b64 s[38:39], s[2:3]
	v_mul_u32_u24_e32 v1, 0x411, v0
	s_mov_b64 s[36:37], s[0:1]
	v_add_u32_sdwa v226, s6, v1 dst_sel:DWORD dst_unused:UNUSED_PAD src0_sel:DWORD src1_sel:WORD_1
	v_mov_b32_e32 v227, 0
	s_add_u32 s36, s36, s7
	s_waitcnt lgkmcnt(0)
	v_cmp_gt_u64_e32 vcc, s[12:13], v[226:227]
	s_addc_u32 s37, s37, 0
	s_and_saveexec_b64 s[0:1], vcc
	s_cbranch_execz .LBB0_31
; %bb.1:
	s_load_dwordx4 s[8:11], s[4:5], 0x18
	s_load_dwordx2 s[12:13], s[4:5], 0x0
	v_mov_b32_e32 v2, 63
	v_mul_lo_u16_sdwa v1, v1, v2 dst_sel:DWORD dst_unused:UNUSED_PAD src0_sel:WORD_1 src1_sel:DWORD
	v_sub_u16_e32 v228, v0, v1
	s_waitcnt lgkmcnt(0)
	s_load_dwordx4 s[0:3], s[8:9], 0x0
	v_lshlrev_b32_e32 v227, 4, v228
	s_waitcnt lgkmcnt(0)
	v_mad_u64_u32 v[0:1], s[6:7], s2, v226, 0
	v_mad_u64_u32 v[2:3], s[6:7], s0, v228, 0
	s_mul_i32 s6, s1, 0xd2
	s_mul_hi_u32 s7, s0, 0xd2
	v_mad_u64_u32 v[4:5], s[2:3], s3, v226, v[1:2]
	s_add_i32 s7, s7, s6
	s_mul_i32 s6, s0, 0xd2
	v_mad_u64_u32 v[5:6], s[2:3], s1, v228, v[3:4]
	v_mov_b32_e32 v1, v4
	v_lshlrev_b64 v[0:1], 4, v[0:1]
	v_mov_b32_e32 v6, s15
	v_mov_b32_e32 v3, v5
	v_add_co_u32_e32 v4, vcc, s14, v0
	v_addc_co_u32_e32 v5, vcc, v6, v1, vcc
	v_lshlrev_b64 v[0:1], 4, v[2:3]
	v_add_co_u32_e64 v224, s[2:3], s12, v227
	v_add_co_u32_e32 v4, vcc, v4, v0
	v_mov_b32_e32 v0, s13
	v_addc_co_u32_e32 v5, vcc, v5, v1, vcc
	v_addc_co_u32_e64 v225, vcc, 0, v0, s[2:3]
	s_lshl_b64 s[14:15], s[6:7], 4
	v_mov_b32_e32 v26, s15
	v_add_co_u32_e32 v6, vcc, s14, v4
	v_addc_co_u32_e32 v7, vcc, v5, v26, vcc
	global_load_dwordx4 v[42:45], v[4:5], off
	global_load_dwordx4 v[46:49], v[6:7], off
	global_load_dwordx4 v[0:3], v227, s[12:13] offset:3360
	v_add_co_u32_e32 v4, vcc, s14, v6
	v_addc_co_u32_e32 v5, vcc, v7, v26, vcc
	s_movk_i32 s6, 0x1000
	v_add_co_u32_e32 v36, vcc, s6, v224
	s_mul_hi_u32 s6, s0, 0xfffffe9b
	s_mulk_i32 s1, 0xfe9b
	s_sub_i32 s6, s6, s0
	global_load_dwordx4 v[50:53], v[4:5], off
	s_add_i32 s1, s6, s1
	s_mulk_i32 s0, 0xfe9b
	global_load_dwordx4 v[32:35], v227, s[12:13]
	global_load_dwordx4 v[8:11], v227, s[12:13] offset:1008
	v_addc_co_u32_e32 v37, vcc, 0, v225, vcc
	s_lshl_b64 s[0:1], s[0:1], 4
	v_mov_b32_e32 v21, s1
	v_add_co_u32_e32 v12, vcc, s0, v4
	v_addc_co_u32_e32 v13, vcc, v5, v21, vcc
	v_add_co_u32_e32 v14, vcc, s14, v12
	v_addc_co_u32_e32 v15, vcc, v13, v26, vcc
	global_load_dwordx4 v[54:57], v[12:13], off
	global_load_dwordx4 v[58:61], v[14:15], off
	global_load_dwordx4 v[4:7], v[36:37], off offset:272
	v_add_co_u32_e32 v12, vcc, s14, v14
	v_addc_co_u32_e32 v13, vcc, v15, v26, vcc
	global_load_dwordx4 v[62:65], v[12:13], off
	global_load_dwordx4 v[28:31], v[36:37], off offset:2624
	global_load_dwordx4 v[16:19], v[36:37], off offset:3632
	v_add_co_u32_e32 v20, vcc, s0, v12
	v_addc_co_u32_e32 v21, vcc, v13, v21, vcc
	v_add_co_u32_e32 v24, vcc, s14, v20
	v_addc_co_u32_e32 v25, vcc, v21, v26, vcc
	;; [unrolled: 2-line block ×3, first 2 shown]
	s_movk_i32 s6, 0x2000
	global_load_dwordx4 v[66:69], v[20:21], off
	global_load_dwordx4 v[12:15], v227, s[12:13] offset:2016
	v_add_co_u32_e32 v38, vcc, s6, v224
	global_load_dwordx4 v[70:73], v[24:25], off
	global_load_dwordx4 v[20:23], v[36:37], off offset:1280
	v_addc_co_u32_e32 v39, vcc, 0, v225, vcc
	global_load_dwordx4 v[74:77], v[40:41], off
	global_load_dwordx4 v[24:27], v[38:39], off offset:544
	s_load_dwordx2 s[6:7], s[4:5], 0x38
	v_cmp_gt_u16_e32 vcc, 21, v228
	s_load_dwordx4 s[8:11], s[10:11], 0x0
	s_waitcnt vmcnt(13)
	v_mul_f64 v[78:79], v[44:45], v[34:35]
	v_mul_f64 v[80:81], v[42:43], v[34:35]
	v_fma_f64 v[42:43], v[42:43], v[32:33], v[78:79]
	v_fma_f64 v[44:45], v[44:45], v[32:33], -v[80:81]
	v_mul_f64 v[78:79], v[48:49], v[2:3]
	v_mul_f64 v[80:81], v[46:47], v[2:3]
	s_waitcnt vmcnt(11)
	v_mul_f64 v[86:87], v[56:57], v[10:11]
	v_mul_f64 v[88:89], v[54:55], v[10:11]
	s_waitcnt vmcnt(9)
	v_mul_f64 v[90:91], v[60:61], v[6:7]
	v_mul_f64 v[92:93], v[58:59], v[6:7]
	ds_write_b128 v227, v[42:45]
	s_waitcnt vmcnt(7)
	v_mul_f64 v[82:83], v[52:53], v[30:31]
	v_mul_f64 v[84:85], v[50:51], v[30:31]
	v_fma_f64 v[42:43], v[46:47], v[0:1], v[78:79]
	v_fma_f64 v[44:45], v[48:49], v[0:1], -v[80:81]
	v_fma_f64 v[46:47], v[50:51], v[28:29], v[82:83]
	v_fma_f64 v[48:49], v[52:53], v[28:29], -v[84:85]
	;; [unrolled: 2-line block ×4, first 2 shown]
	s_waitcnt vmcnt(6)
	v_mul_f64 v[58:59], v[64:65], v[18:19]
	v_mul_f64 v[60:61], v[62:63], v[18:19]
	s_waitcnt vmcnt(4)
	v_mul_f64 v[78:79], v[68:69], v[14:15]
	v_mul_f64 v[80:81], v[66:67], v[14:15]
	;; [unrolled: 3-line block ×4, first 2 shown]
	v_fma_f64 v[58:59], v[62:63], v[16:17], v[58:59]
	v_fma_f64 v[60:61], v[64:65], v[16:17], -v[60:61]
	v_fma_f64 v[62:63], v[66:67], v[12:13], v[78:79]
	v_fma_f64 v[64:65], v[68:69], v[12:13], -v[80:81]
	;; [unrolled: 2-line block ×4, first 2 shown]
	ds_write_b128 v227, v[42:45] offset:3360
	ds_write_b128 v227, v[46:49] offset:6720
	;; [unrolled: 1-line block ×8, first 2 shown]
	s_and_saveexec_b64 s[16:17], vcc
	s_cbranch_execz .LBB0_3
; %bb.2:
	v_mov_b32_e32 v42, s1
	v_add_co_u32_e64 v44, s[0:1], s0, v40
	v_addc_co_u32_e64 v45, s[0:1], v41, v42, s[0:1]
	v_mov_b32_e32 v58, s15
	v_add_co_u32_e64 v56, s[0:1], s14, v44
	global_load_dwordx4 v[40:43], v[44:45], off
	v_addc_co_u32_e64 v57, s[0:1], v45, v58, s[0:1]
	global_load_dwordx4 v[44:47], v[56:57], off
	global_load_dwordx4 v[48:51], v[224:225], off offset:3024
	global_load_dwordx4 v[52:55], v[36:37], off offset:2288
	v_add_co_u32_e64 v36, s[0:1], s14, v56
	v_addc_co_u32_e64 v37, s[0:1], v57, v58, s[0:1]
	global_load_dwordx4 v[56:59], v[38:39], off offset:1552
	global_load_dwordx4 v[60:63], v[36:37], off
	s_waitcnt vmcnt(3)
	v_mul_f64 v[36:37], v[42:43], v[50:51]
	v_mul_f64 v[38:39], v[40:41], v[50:51]
	s_waitcnt vmcnt(2)
	v_mul_f64 v[50:51], v[46:47], v[54:55]
	v_mul_f64 v[54:55], v[44:45], v[54:55]
	;; [unrolled: 3-line block ×3, first 2 shown]
	v_fma_f64 v[36:37], v[40:41], v[48:49], v[36:37]
	v_fma_f64 v[38:39], v[42:43], v[48:49], -v[38:39]
	v_fma_f64 v[40:41], v[44:45], v[52:53], v[50:51]
	v_fma_f64 v[42:43], v[46:47], v[52:53], -v[54:55]
	;; [unrolled: 2-line block ×3, first 2 shown]
	ds_write_b128 v227, v[36:39] offset:3024
	ds_write_b128 v227, v[40:43] offset:6384
	;; [unrolled: 1-line block ×3, first 2 shown]
.LBB0_3:
	s_or_b64 exec, exec, s[16:17]
	s_waitcnt lgkmcnt(0)
	; wave barrier
	s_waitcnt lgkmcnt(0)
	ds_read_b128 v[72:75], v227
	ds_read_b128 v[64:67], v227 offset:1008
	ds_read_b128 v[76:79], v227 offset:6720
	;; [unrolled: 1-line block ×8, first 2 shown]
                                        ; implicit-def: $vgpr40_vgpr41
                                        ; implicit-def: $vgpr52_vgpr53
                                        ; implicit-def: $vgpr56_vgpr57
	s_and_saveexec_b64 s[0:1], vcc
	s_cbranch_execz .LBB0_5
; %bb.4:
	ds_read_b128 v[40:43], v227 offset:3024
	ds_read_b128 v[52:55], v227 offset:6384
	;; [unrolled: 1-line block ×3, first 2 shown]
.LBB0_5:
	s_or_b64 exec, exec, s[0:1]
	s_waitcnt lgkmcnt(4)
	v_add_f64 v[84:85], v[80:81], v[76:77]
	v_add_f64 v[86:87], v[72:73], v[80:81]
	v_add_f64 v[90:91], v[82:83], -v[78:79]
	v_add_co_u32_e64 v204, s[0:1], 63, v228
	s_movk_i32 s0, 0x7e
	v_add_co_u32_e64 v117, s[0:1], s0, v228
	v_fma_f64 v[72:73], v[84:85], -0.5, v[72:73]
	s_movk_i32 s0, 0xbd
	v_add_co_u32_e64 v116, s[0:1], s0, v228
	s_mov_b32 s0, 0xe8584caa
	s_load_dwordx2 s[14:15], s[4:5], 0x8
	s_mov_b32 s1, 0x3febb67a
	s_mov_b32 s5, 0xbfebb67a
	;; [unrolled: 1-line block ×3, first 2 shown]
	v_add_f64 v[92:93], v[82:83], v[78:79]
	v_add_f64 v[84:85], v[86:87], v[76:77]
	;; [unrolled: 1-line block ×3, first 2 shown]
	v_fma_f64 v[88:89], v[90:91], s[0:1], v[72:73]
	s_waitcnt lgkmcnt(0)
	v_add_f64 v[94:95], v[68:69], v[60:61]
	v_add_f64 v[76:77], v[80:81], -v[76:77]
	v_fma_f64 v[80:81], v[90:91], s[4:5], v[72:73]
	v_add_f64 v[72:73], v[70:71], v[62:63]
	v_fma_f64 v[74:75], v[92:93], -0.5, v[74:75]
	v_add_f64 v[96:97], v[48:49], v[36:37]
	v_add_f64 v[86:87], v[82:83], v[78:79]
	;; [unrolled: 1-line block ×3, first 2 shown]
	v_fma_f64 v[92:93], v[94:95], -0.5, v[64:65]
	v_add_f64 v[94:95], v[70:71], -v[62:63]
	v_add_f64 v[70:71], v[66:67], v[70:71]
	v_fma_f64 v[72:73], v[72:73], -0.5, v[66:67]
	v_add_f64 v[68:69], v[68:69], -v[60:61]
	v_fma_f64 v[90:91], v[76:77], s[4:5], v[74:75]
	v_fma_f64 v[82:83], v[76:77], s[0:1], v[74:75]
	v_add_f64 v[74:75], v[44:45], v[48:49]
	v_add_f64 v[60:61], v[78:79], v[60:61]
	v_fma_f64 v[64:65], v[94:95], s[0:1], v[92:93]
	v_fma_f64 v[92:93], v[94:95], s[4:5], v[92:93]
	v_add_f64 v[62:63], v[70:71], v[62:63]
	v_fma_f64 v[66:67], v[68:69], s[4:5], v[72:73]
	v_add_f64 v[70:71], v[50:51], v[38:39]
	;; [unrolled: 2-line block ×3, first 2 shown]
	v_add_f64 v[72:73], v[54:55], v[58:59]
	v_fma_f64 v[76:77], v[96:97], -0.5, v[44:45]
	v_add_f64 v[78:79], v[50:51], -v[38:39]
	v_add_f64 v[44:45], v[74:75], v[36:37]
	v_add_f64 v[50:51], v[46:47], v[50:51]
	v_fma_f64 v[70:71], v[70:71], -0.5, v[46:47]
	v_add_f64 v[36:37], v[48:49], -v[36:37]
	v_add_f64 v[48:49], v[40:41], v[52:53]
	v_fma_f64 v[40:41], v[68:69], -0.5, v[40:41]
	v_add_f64 v[74:75], v[54:55], -v[58:59]
	;; [unrolled: 3-line block ×3, first 2 shown]
	v_fma_f64 v[96:97], v[78:79], s[0:1], v[76:77]
	v_fma_f64 v[100:101], v[78:79], s[4:5], v[76:77]
	v_add_f64 v[46:47], v[50:51], v[38:39]
	v_fma_f64 v[98:99], v[36:37], s[4:5], v[70:71]
	v_fma_f64 v[102:103], v[36:37], s[0:1], v[70:71]
	v_add_f64 v[68:69], v[48:49], v[56:57]
	;; [unrolled: 3-line block ×3, first 2 shown]
	v_fma_f64 v[74:75], v[52:53], s[4:5], v[42:43]
	v_fma_f64 v[78:79], v[52:53], s[0:1], v[42:43]
	v_mul_lo_u16_e32 v36, 3, v228
	v_lshlrev_b32_e32 v231, 4, v36
	v_mul_u32_u24_e32 v36, 3, v204
	v_lshlrev_b32_e32 v232, 4, v36
	v_mul_u32_u24_e32 v36, 3, v117
	;; [unrolled: 2-line block ×3, first 2 shown]
	s_waitcnt lgkmcnt(0)
	; wave barrier
	ds_write_b128 v231, v[84:87]
	ds_write_b128 v231, v[88:91] offset:16
	ds_write_b128 v231, v[80:83] offset:32
	ds_write_b128 v232, v[60:63]
	ds_write_b128 v232, v[64:67] offset:16
	ds_write_b128 v232, v[92:95] offset:32
	;; [unrolled: 3-line block ×3, first 2 shown]
	buffer_store_dword v36, off, s[36:39], 0 offset:4 ; 4-byte Folded Spill
	s_and_saveexec_b64 s[0:1], vcc
	s_cbranch_execz .LBB0_7
; %bb.6:
	v_mul_u32_u24_e32 v36, 3, v116
	v_lshlrev_b32_e32 v36, 4, v36
	ds_write_b128 v36, v[68:71]
	ds_write_b128 v36, v[72:75] offset:16
	ds_write_b128 v36, v[76:79] offset:32
.LBB0_7:
	s_or_b64 exec, exec, s[0:1]
	s_waitcnt lgkmcnt(0)
	; wave barrier
	s_waitcnt lgkmcnt(0)
	ds_read_b128 v[84:87], v227
	ds_read_b128 v[80:83], v227 offset:1008
	ds_read_b128 v[100:103], v227 offset:6720
	;; [unrolled: 1-line block ×8, first 2 shown]
	s_and_saveexec_b64 s[0:1], vcc
	s_cbranch_execz .LBB0_9
; %bb.8:
	ds_read_b128 v[68:71], v227 offset:3024
	ds_read_b128 v[72:75], v227 offset:6384
	;; [unrolled: 1-line block ×3, first 2 shown]
.LBB0_9:
	s_or_b64 exec, exec, s[0:1]
	s_movk_i32 s0, 0xab
	v_mul_lo_u16_sdwa v36, v228, s0 dst_sel:DWORD dst_unused:UNUSED_PAD src0_sel:BYTE_0 src1_sel:DWORD
	v_lshrrev_b16_e32 v118, 9, v36
	v_mul_lo_u16_e32 v36, 3, v118
	v_sub_u16_e32 v36, v228, v36
	v_and_b32_e32 v119, 0xff, v36
	v_lshlrev_b32_e32 v44, 5, v119
	global_load_dwordx4 v[36:39], v44, s[14:15] offset:16
	global_load_dwordx4 v[40:43], v44, s[14:15]
	v_mul_lo_u16_sdwa v44, v204, s0 dst_sel:DWORD dst_unused:UNUSED_PAD src0_sel:BYTE_0 src1_sel:DWORD
	v_lshrrev_b16_e32 v156, 9, v44
	v_mul_lo_u16_e32 v44, 3, v156
	v_sub_u16_e32 v44, v204, v44
	v_and_b32_e32 v157, 0xff, v44
	v_lshlrev_b32_e32 v52, 5, v157
	global_load_dwordx4 v[44:47], v52, s[14:15] offset:16
	global_load_dwordx4 v[48:51], v52, s[14:15]
	;; [unrolled: 8-line block ×3, first 2 shown]
	v_mul_lo_u16_sdwa v60, v116, s0 dst_sel:DWORD dst_unused:UNUSED_PAD src0_sel:BYTE_0 src1_sel:DWORD
	v_lshrrev_b16_e32 v160, 9, v60
	v_mul_lo_u16_e32 v60, 3, v160
	v_sub_u16_e32 v60, v116, v60
	v_and_b32_e32 v234, 0xff, v60
	v_lshlrev_b32_e32 v60, 5, v234
	global_load_dwordx4 v[64:67], v60, s[14:15]
	s_nop 0
	global_load_dwordx4 v[60:63], v60, s[14:15] offset:16
	v_mul_u32_u24_e32 v116, 9, v118
	v_add_lshl_u32 v235, v116, v119, 4
	s_mov_b32 s0, 0xe8584caa
	s_mov_b32 s1, 0x3febb67a
	;; [unrolled: 1-line block ×3, first 2 shown]
	s_waitcnt lgkmcnt(0)
	; wave barrier
	s_waitcnt vmcnt(7) lgkmcnt(0)
	v_mul_f64 v[120:121], v[102:103], v[38:39]
	s_waitcnt vmcnt(6)
	v_mul_f64 v[116:117], v[114:115], v[42:43]
	v_mul_f64 v[118:119], v[112:113], v[42:43]
	;; [unrolled: 1-line block ×3, first 2 shown]
	s_waitcnt vmcnt(5)
	v_mul_f64 v[128:129], v[94:95], v[46:47]
	s_waitcnt vmcnt(4)
	v_mul_f64 v[124:125], v[110:111], v[50:51]
	v_mul_f64 v[126:127], v[108:109], v[50:51]
	v_mul_f64 v[130:131], v[92:93], v[46:47]
	v_fma_f64 v[112:113], v[112:113], v[40:41], -v[116:117]
	v_fma_f64 v[114:115], v[114:115], v[40:41], v[118:119]
	v_fma_f64 v[100:101], v[100:101], v[36:37], -v[120:121]
	s_waitcnt vmcnt(3)
	v_mul_f64 v[136:137], v[98:99], v[54:55]
	s_waitcnt vmcnt(2)
	v_mul_f64 v[132:133], v[106:107], v[58:59]
	v_mul_f64 v[134:135], v[104:105], v[58:59]
	;; [unrolled: 1-line block ×3, first 2 shown]
	v_fma_f64 v[102:103], v[102:103], v[36:37], v[122:123]
	v_fma_f64 v[108:109], v[108:109], v[48:49], -v[124:125]
	v_fma_f64 v[110:111], v[110:111], v[48:49], v[126:127]
	s_waitcnt vmcnt(1)
	v_mul_f64 v[140:141], v[74:75], v[66:67]
	v_mul_f64 v[142:143], v[72:73], v[66:67]
	s_waitcnt vmcnt(0)
	v_mul_f64 v[144:145], v[78:79], v[62:63]
	v_mul_f64 v[146:147], v[76:77], v[62:63]
	v_fma_f64 v[116:117], v[92:93], v[44:45], -v[128:129]
	v_fma_f64 v[118:119], v[94:95], v[44:45], v[130:131]
	v_fma_f64 v[94:95], v[104:105], v[56:57], -v[132:133]
	v_fma_f64 v[104:105], v[106:107], v[56:57], v[134:135]
	;; [unrolled: 2-line block ×5, first 2 shown]
	v_add_f64 v[78:79], v[84:85], v[112:113]
	v_add_f64 v[120:121], v[112:113], v[100:101]
	v_add_f64 v[122:123], v[114:115], -v[102:103]
	v_add_f64 v[96:97], v[86:87], v[114:115]
	v_add_f64 v[114:115], v[114:115], v[102:103]
	;; [unrolled: 1-line block ×3, first 2 shown]
	v_add_f64 v[128:129], v[110:111], -v[118:119]
	v_add_f64 v[130:131], v[82:83], v[110:111]
	v_add_f64 v[110:111], v[110:111], v[118:119]
	;; [unrolled: 1-line block ×6, first 2 shown]
	v_add_f64 v[136:137], v[104:105], -v[98:99]
	v_add_f64 v[138:139], v[90:91], v[104:105]
	v_add_f64 v[104:105], v[104:105], v[98:99]
	v_add_f64 v[112:113], v[112:113], -v[100:101]
	v_add_f64 v[132:133], v[88:89], v[94:95]
	v_add_f64 v[140:141], v[94:95], -v[106:107]
	v_add_f64 v[94:95], v[78:79], v[100:101]
	v_add_f64 v[96:97], v[96:97], v[102:103]
	v_fma_f64 v[100:101], v[120:121], -0.5, v[84:85]
	v_fma_f64 v[102:103], v[114:115], -0.5, v[86:87]
	v_add_f64 v[108:109], v[108:109], -v[116:117]
	v_fma_f64 v[114:115], v[126:127], -0.5, v[80:81]
	v_fma_f64 v[110:111], v[110:111], -0.5, v[82:83]
	v_add_f64 v[144:145], v[92:93], -v[76:77]
	v_add_f64 v[154:155], v[72:73], -v[74:75]
	v_add_f64 v[80:81], v[130:131], v[118:119]
	v_fma_f64 v[118:119], v[142:143], -0.5, v[68:69]
	v_fma_f64 v[120:121], v[146:147], -0.5, v[70:71]
	v_add_f64 v[78:79], v[124:125], v[116:117]
	v_fma_f64 v[116:117], v[134:135], -0.5, v[88:89]
	v_fma_f64 v[90:91], v[104:105], -0.5, v[90:91]
	v_fma_f64 v[86:87], v[122:123], s[0:1], v[100:101]
	v_fma_f64 v[88:89], v[112:113], s[4:5], v[102:103]
	v_add_f64 v[84:85], v[138:139], v[98:99]
	v_fma_f64 v[98:99], v[122:123], s[4:5], v[100:101]
	v_fma_f64 v[100:101], v[112:113], s[0:1], v[102:103]
	v_fma_f64 v[102:103], v[128:129], s[0:1], v[114:115]
	v_fma_f64 v[104:105], v[108:109], s[4:5], v[110:111]
	v_add_f64 v[82:83], v[132:133], v[106:107]
	v_fma_f64 v[106:107], v[128:129], s[4:5], v[114:115]
	v_fma_f64 v[108:109], v[108:109], s[0:1], v[110:111]
	;; [unrolled: 1-line block ×10, first 2 shown]
	ds_write_b128 v235, v[94:97]
	ds_write_b128 v235, v[86:89] offset:48
	ds_write_b128 v235, v[98:101] offset:96
	v_mul_u32_u24_e32 v86, 9, v156
	v_add_lshl_u32 v236, v86, v157, 4
	ds_write_b128 v236, v[78:81]
	ds_write_b128 v236, v[102:105] offset:48
	ds_write_b128 v236, v[106:109] offset:96
	v_mul_u32_u24_e32 v78, 9, v158
	v_add_lshl_u32 v237, v78, v159, 4
	v_mul_u32_u24_e32 v78, 9, v160
	ds_write_b128 v237, v[82:85]
	ds_write_b128 v237, v[110:113] offset:48
	ds_write_b128 v237, v[114:117] offset:96
	buffer_store_dword v78, off, s[36:39], 0 ; 4-byte Folded Spill
	s_and_saveexec_b64 s[0:1], vcc
	s_cbranch_execz .LBB0_11
; %bb.10:
	v_add_f64 v[68:69], v[68:69], v[72:73]
	buffer_load_dword v72, off, s[36:39], 0 ; 4-byte Folded Reload
	v_add_f64 v[70:71], v[70:71], v[92:93]
	v_add_f64 v[68:69], v[68:69], v[74:75]
	;; [unrolled: 1-line block ×3, first 2 shown]
	s_waitcnt vmcnt(0)
	v_add_lshl_u32 v72, v72, v234, 4
	ds_write_b128 v72, v[148:151] offset:48
	ds_write_b128 v72, v[68:71]
	ds_write_b128 v72, v[152:155] offset:96
.LBB0_11:
	s_or_b64 exec, exec, s[0:1]
	v_mov_b32_e32 v68, 57
	v_mul_lo_u16_sdwa v69, v228, v68 dst_sel:DWORD dst_unused:UNUSED_PAD src0_sel:BYTE_0 src1_sel:DWORD
	v_lshrrev_b16_e32 v194, 9, v69
	v_mul_lo_u16_e32 v69, 9, v194
	v_sub_u16_e32 v69, v228, v69
	v_and_b32_e32 v195, 0xff, v69
	v_lshlrev_b32_e32 v69, 6, v195
	s_waitcnt lgkmcnt(0)
	; wave barrier
	s_waitcnt lgkmcnt(0)
	global_load_dwordx4 v[96:99], v69, s[14:15] offset:112
	global_load_dwordx4 v[108:111], v69, s[14:15] offset:96
	;; [unrolled: 1-line block ×4, first 2 shown]
	v_mul_lo_u16_sdwa v68, v204, v68 dst_sel:DWORD dst_unused:UNUSED_PAD src0_sel:BYTE_0 src1_sel:DWORD
	v_lshrrev_b16_e32 v196, 9, v68
	v_mul_lo_u16_e32 v68, 9, v196
	v_sub_u16_e32 v68, v204, v68
	v_and_b32_e32 v197, 0xff, v68
	v_lshlrev_b32_e32 v68, 6, v197
	global_load_dwordx4 v[120:123], v68, s[14:15] offset:96
	global_load_dwordx4 v[116:119], v68, s[14:15] offset:112
	;; [unrolled: 1-line block ×4, first 2 shown]
	ds_read_b128 v[68:71], v227
	ds_read_b128 v[72:75], v227 offset:1008
	ds_read_b128 v[76:79], v227 offset:2016
	;; [unrolled: 1-line block ×9, first 2 shown]
	s_mov_b32 s16, 0x134454ff
	s_mov_b32 s17, 0x3fee6f0e
	;; [unrolled: 1-line block ×10, first 2 shown]
	s_waitcnt lgkmcnt(0)
	; wave barrier
	s_waitcnt lgkmcnt(0)
                                        ; implicit-def: $vgpr200_vgpr201
	s_waitcnt vmcnt(7) lgkmcnt(5)
	v_mul_f64 v[144:145], v[90:91], v[98:99]
	s_waitcnt vmcnt(6)
	v_mul_f64 v[140:141], v[78:79], v[110:111]
	s_waitcnt vmcnt(5) lgkmcnt(1)
	v_mul_f64 v[160:161], v[134:135], v[94:95]
	s_waitcnt vmcnt(4)
	v_mul_f64 v[156:157], v[126:127], v[106:107]
	v_mul_f64 v[142:143], v[76:77], v[110:111]
	;; [unrolled: 1-line block ×5, first 2 shown]
	s_waitcnt vmcnt(3)
	v_mul_f64 v[164:165], v[82:83], v[122:123]
	v_mul_f64 v[166:167], v[80:81], v[122:123]
	v_fma_f64 v[76:77], v[76:77], v[108:109], -v[140:141]
	v_fma_f64 v[88:89], v[88:89], v[96:97], -v[144:145]
	v_fma_f64 v[124:125], v[124:125], v[104:105], -v[156:157]
	v_fma_f64 v[132:133], v[132:133], v[92:93], -v[160:161]
	s_waitcnt vmcnt(2)
	v_mul_f64 v[168:169], v[102:103], v[118:119]
	s_waitcnt vmcnt(0) lgkmcnt(0)
	v_mul_f64 v[176:177], v[138:139], v[86:87]
	v_fma_f64 v[78:79], v[78:79], v[108:109], v[142:143]
	v_fma_f64 v[90:91], v[90:91], v[96:97], v[146:147]
	;; [unrolled: 1-line block ×4, first 2 shown]
	v_mul_f64 v[170:171], v[100:101], v[118:119]
	v_fma_f64 v[140:141], v[80:81], v[120:121], -v[164:165]
	v_fma_f64 v[142:143], v[82:83], v[120:121], v[166:167]
	v_add_f64 v[80:81], v[68:69], v[76:77]
	v_add_f64 v[82:83], v[88:89], v[124:125]
	;; [unrolled: 1-line block ×3, first 2 shown]
	v_mul_f64 v[172:173], v[130:131], v[114:115]
	v_mul_f64 v[174:175], v[128:129], v[114:115]
	;; [unrolled: 1-line block ×3, first 2 shown]
	v_fma_f64 v[144:145], v[100:101], v[116:117], -v[168:169]
	v_fma_f64 v[136:137], v[136:137], v[84:85], -v[176:177]
	v_add_f64 v[156:157], v[76:77], -v[88:89]
	v_add_f64 v[158:159], v[132:133], -v[124:125]
	v_add_f64 v[166:167], v[70:71], v[78:79]
	v_add_f64 v[168:169], v[90:91], v[126:127]
	;; [unrolled: 1-line block ×3, first 2 shown]
	v_fma_f64 v[146:147], v[102:103], v[116:117], v[170:171]
	v_add_f64 v[100:101], v[78:79], -v[134:135]
	v_add_f64 v[102:103], v[90:91], -v[126:127]
	v_add_f64 v[80:81], v[80:81], v[88:89]
	v_fma_f64 v[82:83], v[82:83], -0.5, v[68:69]
	v_fma_f64 v[68:69], v[160:161], -0.5, v[68:69]
	v_fma_f64 v[128:129], v[128:129], v[112:113], -v[172:173]
	v_fma_f64 v[130:131], v[130:131], v[112:113], v[174:175]
	v_add_f64 v[162:163], v[88:89], -v[76:77]
	v_add_f64 v[170:171], v[76:77], -v[132:133]
	;; [unrolled: 1-line block ×6, first 2 shown]
	v_add_f64 v[88:89], v[156:157], v[158:159]
	v_add_f64 v[90:91], v[166:167], v[90:91]
	v_fma_f64 v[158:159], v[168:169], -0.5, v[70:71]
	v_fma_f64 v[70:71], v[176:177], -0.5, v[70:71]
	v_add_f64 v[164:165], v[124:125], -v[132:133]
	v_add_f64 v[80:81], v[80:81], v[124:125]
	v_fma_f64 v[124:125], v[100:101], s[16:17], v[82:83]
	v_fma_f64 v[82:83], v[100:101], s[20:21], v[82:83]
	;; [unrolled: 1-line block ×4, first 2 shown]
	v_add_f64 v[182:183], v[144:145], v[128:129]
	v_add_f64 v[178:179], v[126:127], -v[134:135]
	v_add_f64 v[180:181], v[72:73], v[140:141]
	v_add_f64 v[160:161], v[172:173], v[174:175]
	;; [unrolled: 1-line block ×3, first 2 shown]
	v_fma_f64 v[126:127], v[170:171], s[20:21], v[158:159]
	v_fma_f64 v[172:173], v[76:77], s[16:17], v[70:71]
	v_add_f64 v[156:157], v[162:163], v[164:165]
	v_fma_f64 v[168:169], v[102:103], s[16:17], v[68:69]
	v_fma_f64 v[158:159], v[170:171], s[16:17], v[158:159]
	;; [unrolled: 1-line block ×3, first 2 shown]
	v_add_f64 v[68:69], v[80:81], v[132:133]
	v_fma_f64 v[80:81], v[102:103], s[0:1], v[124:125]
	v_fma_f64 v[82:83], v[102:103], s[18:19], v[82:83]
	;; [unrolled: 1-line block ×3, first 2 shown]
	v_add_f64 v[184:185], v[142:143], -v[138:139]
	v_fma_f64 v[164:165], v[182:183], -0.5, v[72:73]
	v_add_f64 v[162:163], v[78:79], v[178:179]
	v_add_f64 v[78:79], v[180:181], v[144:145]
	;; [unrolled: 1-line block ×3, first 2 shown]
	v_fma_f64 v[90:91], v[76:77], s[18:19], v[126:127]
	v_fma_f64 v[126:127], v[170:171], s[18:19], v[172:173]
	;; [unrolled: 1-line block ×7, first 2 shown]
	v_add_f64 v[186:187], v[146:147], -v[130:131]
	v_add_f64 v[188:189], v[140:141], -v[144:145]
	;; [unrolled: 1-line block ×3, first 2 shown]
	v_add_f64 v[192:193], v[140:141], v[136:137]
	v_fma_f64 v[176:177], v[184:185], s[16:17], v[164:165]
	v_fma_f64 v[100:101], v[100:101], s[18:19], v[168:169]
	v_add_f64 v[132:133], v[78:79], v[128:129]
	v_fma_f64 v[78:79], v[160:161], s[4:5], v[90:91]
	v_fma_f64 v[90:91], v[162:163], s[4:5], v[126:127]
	v_add_f64 v[126:127], v[146:147], v[130:131]
	v_fma_f64 v[102:103], v[162:163], s[4:5], v[102:103]
	v_add_f64 v[162:163], v[142:143], v[138:139]
	v_fma_f64 v[134:135], v[186:187], s[0:1], v[176:177]
	v_fma_f64 v[100:101], v[156:157], s[4:5], v[100:101]
	v_add_f64 v[156:157], v[188:189], v[190:191]
	v_fma_f64 v[158:159], v[192:193], -0.5, v[72:73]
	v_add_f64 v[166:167], v[74:75], v[142:143]
	v_fma_f64 v[82:83], v[160:161], s[4:5], v[124:125]
	v_add_f64 v[72:73], v[132:133], v[136:137]
	v_fma_f64 v[132:133], v[184:185], s[20:21], v[164:165]
	v_add_f64 v[160:161], v[144:145], -v[140:141]
	v_add_f64 v[164:165], v[128:129], -v[136:137]
	v_fma_f64 v[126:127], v[126:127], -0.5, v[74:75]
	v_add_f64 v[136:137], v[140:141], -v[136:137]
	v_add_f64 v[128:129], v[144:145], -v[128:129]
	v_fma_f64 v[74:75], v[162:163], -0.5, v[74:75]
	v_fma_f64 v[124:125], v[156:157], s[4:5], v[134:135]
	v_fma_f64 v[134:135], v[186:187], s[20:21], v[158:159]
	;; [unrolled: 1-line block ×3, first 2 shown]
	v_add_f64 v[158:159], v[166:167], v[146:147]
	v_add_f64 v[140:141], v[160:161], v[164:165]
	v_fma_f64 v[160:161], v[136:137], s[20:21], v[126:127]
	v_add_f64 v[162:163], v[142:143], -v[146:147]
	v_add_f64 v[164:165], v[138:139], -v[130:131]
	v_fma_f64 v[166:167], v[128:129], s[16:17], v[74:75]
	v_add_f64 v[142:143], v[146:147], -v[142:143]
	v_add_f64 v[146:147], v[130:131], -v[138:139]
	v_fma_f64 v[126:127], v[136:137], s[16:17], v[126:127]
	v_fma_f64 v[74:75], v[128:129], s[20:21], v[74:75]
	v_add_f64 v[130:131], v[158:159], v[130:131]
	v_fma_f64 v[158:159], v[128:129], s[18:19], v[160:161]
	v_add_f64 v[162:163], v[162:163], v[164:165]
	v_fma_f64 v[132:133], v[186:187], s[18:19], v[132:133]
	v_fma_f64 v[134:135], v[184:185], s[0:1], v[134:135]
	v_fma_f64 v[168:169], v[136:137], s[18:19], v[166:167]
	v_add_f64 v[142:143], v[142:143], v[146:147]
	v_fma_f64 v[144:145], v[184:185], s[18:19], v[144:145]
	v_fma_f64 v[128:129], v[128:129], s[0:1], v[126:127]
	;; [unrolled: 4-line block ×3, first 2 shown]
	v_fma_f64 v[156:157], v[140:141], s[4:5], v[134:135]
	v_fma_f64 v[158:159], v[142:143], s[4:5], v[168:169]
	;; [unrolled: 1-line block ×5, first 2 shown]
	v_mul_u32_u24_e32 v128, 45, v194
	v_add_lshl_u32 v239, v128, v195, 4
	ds_write_b128 v239, v[68:71]
	ds_write_b128 v239, v[76:79] offset:144
	ds_write_b128 v239, v[88:91] offset:288
	;; [unrolled: 1-line block ×4, first 2 shown]
	v_mul_u32_u24_e32 v68, 45, v196
	v_add_lshl_u32 v240, v68, v197, 4
	ds_write_b128 v240, v[72:75]
	ds_write_b128 v240, v[124:127] offset:144
	ds_write_b128 v240, v[156:159] offset:288
	ds_write_b128 v240, v[160:163] offset:432
	ds_write_b128 v240, v[164:167] offset:576
	s_waitcnt lgkmcnt(0)
	; wave barrier
	s_waitcnt lgkmcnt(0)
	ds_read_b128 v[168:171], v227
	ds_read_b128 v[196:199], v227 offset:1440
	ds_read_b128 v[192:195], v227 offset:2880
	;; [unrolled: 1-line block ×6, first 2 shown]
	v_cmp_gt_u16_e64 s[0:1], 27, v228
                                        ; implicit-def: $vgpr172_vgpr173
	s_and_saveexec_b64 s[4:5], s[0:1]
	s_cbranch_execz .LBB0_13
; %bb.12:
	ds_read_b128 v[156:159], v227 offset:1008
	ds_read_b128 v[160:163], v227 offset:2448
	;; [unrolled: 1-line block ×7, first 2 shown]
.LBB0_13:
	s_or_b64 exec, exec, s[4:5]
	v_subrev_u32_e32 v68, 45, v228
	v_cmp_gt_u16_e64 s[4:5], 45, v228
	v_cndmask_b32_e64 v205, v68, v228, s[4:5]
	v_mul_i32_i24_e32 v68, 0x60, v205
	v_mul_hi_i32_i24_e32 v69, 0x60, v205
	v_mov_b32_e32 v70, s15
	v_add_co_u32_e64 v68, s[4:5], s14, v68
	v_addc_co_u32_e64 v69, s[4:5], v70, v69, s[4:5]
	global_load_dwordx4 v[136:139], v[68:69], off offset:672
	global_load_dwordx4 v[132:135], v[68:69], off offset:688
	;; [unrolled: 1-line block ×6, first 2 shown]
	s_movk_i32 s5, 0x6d
	v_mul_lo_u16_sdwa v68, v204, s5 dst_sel:DWORD dst_unused:UNUSED_PAD src0_sel:BYTE_0 src1_sel:DWORD
	v_sub_u16_sdwa v69, v204, v68 dst_sel:DWORD dst_unused:UNUSED_PAD src0_sel:DWORD src1_sel:BYTE_1
	v_lshrrev_b16_e32 v69, 1, v69
	v_and_b32_e32 v69, 0x7f, v69
	v_add_u16_sdwa v68, v69, v68 dst_sel:DWORD dst_unused:UNUSED_PAD src0_sel:DWORD src1_sel:BYTE_1
	v_lshrrev_b16_e32 v68, 5, v68
	v_mul_lo_u16_e32 v68, 45, v68
	v_sub_u16_e32 v238, v204, v68
	v_mov_b32_e32 v69, s15
	s_movk_i32 s4, 0x60
	v_and_b32_e32 v204, 0xff, v238
	v_mov_b32_e32 v68, s14
	v_mad_u64_u32 v[88:89], s[4:5], v204, s4, v[68:69]
	global_load_dwordx4 v[76:79], v[88:89], off offset:672
	global_load_dwordx4 v[80:83], v[88:89], off offset:688
	;; [unrolled: 1-line block ×5, first 2 shown]
	s_nop 0
	global_load_dwordx4 v[88:91], v[88:89], off offset:752
	s_mov_b32 s16, 0x37e14327
	s_mov_b32 s4, 0x36b3c0b5
	;; [unrolled: 1-line block ×20, first 2 shown]
	s_waitcnt lgkmcnt(0)
	; wave barrier
	s_waitcnt vmcnt(11) lgkmcnt(0)
	v_mul_f64 v[206:207], v[198:199], v[138:139]
	v_mul_f64 v[208:209], v[196:197], v[138:139]
	s_waitcnt vmcnt(10)
	v_mul_f64 v[210:211], v[194:195], v[134:135]
	v_mul_f64 v[212:213], v[192:193], v[134:135]
	s_waitcnt vmcnt(6)
	v_mul_f64 v[222:223], v[182:183], v[146:147]
	v_mul_f64 v[241:242], v[180:181], v[146:147]
	;; [unrolled: 1-line block ×8, first 2 shown]
	v_fma_f64 v[196:197], v[196:197], v[136:137], -v[206:207]
	v_fma_f64 v[198:199], v[198:199], v[136:137], v[208:209]
	v_fma_f64 v[192:193], v[192:193], v[132:133], -v[210:211]
	v_fma_f64 v[194:195], v[194:195], v[132:133], v[212:213]
	;; [unrolled: 2-line block ×6, first 2 shown]
	s_waitcnt vmcnt(5)
	v_mul_f64 v[206:207], v[162:163], v[78:79]
	v_mul_f64 v[208:209], v[160:161], v[78:79]
	v_add_f64 v[247:248], v[196:197], v[176:177]
	v_add_f64 v[249:250], v[198:199], v[178:179]
	v_add_f64 v[176:177], v[196:197], -v[176:177]
	v_add_f64 v[178:179], v[198:199], -v[178:179]
	v_add_f64 v[196:197], v[192:193], v[180:181]
	v_add_f64 v[198:199], v[194:195], v[182:183]
	s_waitcnt vmcnt(3)
	v_mul_f64 v[214:215], v[150:151], v[74:75]
	v_mul_f64 v[216:217], v[148:149], v[74:75]
	s_waitcnt vmcnt(2)
	v_mul_f64 v[218:219], v[154:155], v[70:71]
	v_mul_f64 v[220:221], v[152:153], v[70:71]
	;; [unrolled: 3-line block ×3, first 2 shown]
	v_add_f64 v[180:181], v[192:193], -v[180:181]
	v_add_f64 v[182:183], v[194:195], -v[182:183]
	v_add_f64 v[192:193], v[188:189], v[184:185]
	v_add_f64 v[194:195], v[190:191], v[186:187]
	v_add_f64 v[184:185], v[184:185], -v[188:189]
	v_add_f64 v[186:187], v[186:187], -v[190:191]
	v_add_f64 v[188:189], v[196:197], v[247:248]
	v_add_f64 v[190:191], v[198:199], v[249:250]
	v_mul_f64 v[210:211], v[166:167], v[82:83]
	v_mul_f64 v[212:213], v[164:165], v[82:83]
	v_fma_f64 v[160:161], v[160:161], v[76:77], -v[206:207]
	v_fma_f64 v[162:163], v[162:163], v[76:77], v[208:209]
	v_fma_f64 v[148:149], v[148:149], v[72:73], -v[214:215]
	v_fma_f64 v[150:151], v[150:151], v[72:73], v[216:217]
	;; [unrolled: 2-line block ×4, first 2 shown]
	v_add_f64 v[200:201], v[196:197], -v[247:248]
	v_add_f64 v[202:203], v[198:199], -v[249:250]
	;; [unrolled: 1-line block ×8, first 2 shown]
	v_add_f64 v[188:189], v[192:193], v[188:189]
	v_add_f64 v[190:191], v[194:195], v[190:191]
	v_fma_f64 v[164:165], v[164:165], v[80:81], -v[210:211]
	v_fma_f64 v[166:167], v[166:167], v[80:81], v[212:213]
	v_add_f64 v[210:211], v[184:185], v[180:181]
	v_add_f64 v[212:213], v[186:187], v[182:183]
	v_add_f64 v[222:223], v[176:177], -v[184:185]
	v_add_f64 v[241:242], v[178:179], -v[186:187]
	;; [unrolled: 1-line block ×4, first 2 shown]
	v_mul_f64 v[192:193], v[206:207], s[16:17]
	v_mul_f64 v[194:195], v[208:209], s[16:17]
	;; [unrolled: 1-line block ×4, first 2 shown]
	v_add_f64 v[184:185], v[168:169], v[188:189]
	v_add_f64 v[186:187], v[170:171], v[190:191]
	v_mul_f64 v[168:169], v[218:219], s[20:21]
	v_mul_f64 v[170:171], v[220:221], s[20:21]
	s_waitcnt vmcnt(0)
	v_mul_f64 v[243:244], v[174:175], v[90:91]
	v_mul_f64 v[245:246], v[172:173], v[90:91]
	v_add_f64 v[176:177], v[210:211], v[176:177]
	v_add_f64 v[178:179], v[212:213], v[178:179]
	v_fma_f64 v[188:189], v[188:189], s[22:23], v[184:185]
	v_fma_f64 v[190:191], v[190:191], s[22:23], v[186:187]
	v_fma_f64 v[196:197], v[196:197], s[4:5], v[192:193]
	v_fma_f64 v[198:199], v[198:199], s[4:5], v[194:195]
	v_fma_f64 v[206:207], v[200:201], s[24:25], -v[206:207]
	v_fma_f64 v[208:209], v[202:203], s[24:25], -v[208:209]
	v_fma_f64 v[192:193], v[200:201], s[26:27], -v[192:193]
	v_fma_f64 v[194:195], v[202:203], s[26:27], -v[194:195]
	v_fma_f64 v[200:201], v[222:223], s[30:31], v[168:169]
	v_fma_f64 v[202:203], v[241:242], s[30:31], v[170:171]
	v_fma_f64 v[168:169], v[180:181], s[18:19], -v[168:169]
	v_fma_f64 v[170:171], v[182:183], s[18:19], -v[170:171]
	v_mul_f64 v[210:211], v[180:181], s[18:19]
	v_mul_f64 v[212:213], v[182:183], s[18:19]
	v_add_f64 v[206:207], v[206:207], v[188:189]
	v_add_f64 v[208:209], v[208:209], v[190:191]
	v_fma_f64 v[172:173], v[172:173], v[88:89], -v[243:244]
	v_fma_f64 v[174:175], v[174:175], v[88:89], v[245:246]
	v_fma_f64 v[168:169], v[176:177], s[28:29], v[168:169]
	v_fma_f64 v[170:171], v[178:179], s[28:29], v[170:171]
	v_fma_f64 v[180:181], v[222:223], s[34:35], -v[210:211]
	v_fma_f64 v[182:183], v[241:242], s[34:35], -v[212:213]
	v_add_f64 v[210:211], v[196:197], v[188:189]
	v_add_f64 v[212:213], v[198:199], v[190:191]
	v_fma_f64 v[222:223], v[178:179], s[28:29], v[202:203]
	v_fma_f64 v[241:242], v[176:177], s[28:29], v[200:201]
	v_add_f64 v[198:199], v[168:169], v[208:209]
	v_add_f64 v[196:197], v[206:207], -v[170:171]
	v_add_f64 v[200:201], v[170:171], v[206:207]
	v_add_f64 v[202:203], v[208:209], -v[168:169]
	v_add_f64 v[168:169], v[160:161], v[172:173]
	v_add_f64 v[170:171], v[162:163], v[174:175]
	v_add_f64 v[160:161], v[160:161], -v[172:173]
	v_add_f64 v[162:163], v[162:163], -v[174:175]
	v_add_f64 v[172:173], v[164:165], v[214:215]
	v_add_f64 v[174:175], v[166:167], v[216:217]
	;; [unrolled: 1-line block ×4, first 2 shown]
	v_fma_f64 v[182:183], v[178:179], s[28:29], v[182:183]
	v_fma_f64 v[180:181], v[176:177], s[28:29], v[180:181]
	v_add_f64 v[164:165], v[164:165], -v[214:215]
	v_add_f64 v[166:167], v[166:167], -v[216:217]
	v_add_f64 v[176:177], v[148:149], v[152:153]
	v_add_f64 v[178:179], v[150:151], v[154:155]
	v_add_f64 v[148:149], v[152:153], -v[148:149]
	v_add_f64 v[150:151], v[154:155], -v[150:151]
	v_add_f64 v[152:153], v[172:173], v[168:169]
	v_add_f64 v[154:155], v[174:175], v[170:171]
	;; [unrolled: 1-line block ×3, first 2 shown]
	v_add_f64 v[194:195], v[220:221], -v[180:181]
	v_add_f64 v[206:207], v[218:219], -v[182:183]
	v_add_f64 v[208:209], v[180:181], v[220:221]
	v_add_f64 v[180:181], v[172:173], -v[168:169]
	v_add_f64 v[182:183], v[174:175], -v[170:171]
	;; [unrolled: 1-line block ×6, first 2 shown]
	v_add_f64 v[214:215], v[148:149], v[164:165]
	v_add_f64 v[216:217], v[150:151], v[166:167]
	v_add_f64 v[218:219], v[148:149], -v[164:165]
	v_add_f64 v[220:221], v[150:151], -v[166:167]
	v_add_f64 v[152:153], v[176:177], v[152:153]
	v_add_f64 v[154:155], v[178:179], v[154:155]
	v_add_f64 v[164:165], v[164:165], -v[160:161]
	v_add_f64 v[166:167], v[166:167], -v[162:163]
	v_add_f64 v[176:177], v[160:161], -v[148:149]
	v_add_f64 v[178:179], v[162:163], -v[150:151]
	v_add_f64 v[214:215], v[214:215], v[160:161]
	v_add_f64 v[160:161], v[216:217], v[162:163]
	;; [unrolled: 1-line block ×4, first 2 shown]
	v_mul_f64 v[156:157], v[168:169], s[16:17]
	v_mul_f64 v[158:159], v[170:171], s[16:17]
	;; [unrolled: 1-line block ×8, first 2 shown]
	v_add_f64 v[188:189], v[222:223], v[210:211]
	v_add_f64 v[190:191], v[212:213], -v[241:242]
	v_add_f64 v[210:211], v[210:211], -v[222:223]
	v_add_f64 v[212:213], v[241:242], v[212:213]
	v_fma_f64 v[222:223], v[152:153], s[22:23], v[148:149]
	v_fma_f64 v[241:242], v[154:155], s[22:23], v[150:151]
	;; [unrolled: 1-line block ×4, first 2 shown]
	v_fma_f64 v[162:163], v[180:181], s[24:25], -v[162:163]
	v_fma_f64 v[168:169], v[182:183], s[24:25], -v[168:169]
	;; [unrolled: 1-line block ×4, first 2 shown]
	v_fma_f64 v[172:173], v[176:177], s[30:31], v[170:171]
	v_fma_f64 v[174:175], v[178:179], s[30:31], v[216:217]
	v_fma_f64 v[166:167], v[166:167], s[18:19], -v[216:217]
	v_fma_f64 v[164:165], v[164:165], s[18:19], -v[170:171]
	;; [unrolled: 1-line block ×4, first 2 shown]
	v_add_f64 v[152:153], v[152:153], v[222:223]
	v_add_f64 v[154:155], v[154:155], v[241:242]
	;; [unrolled: 1-line block ×4, first 2 shown]
	v_fma_f64 v[182:183], v[160:161], s[28:29], v[166:167]
	v_fma_f64 v[216:217], v[214:215], s[28:29], v[164:165]
	v_add_f64 v[156:157], v[156:157], v[222:223]
	v_add_f64 v[164:165], v[158:159], v[241:242]
	v_fma_f64 v[158:159], v[160:161], s[28:29], v[176:177]
	v_fma_f64 v[166:167], v[214:215], s[28:29], v[170:171]
	;; [unrolled: 1-line block ×4, first 2 shown]
	v_add_f64 v[176:177], v[180:181], -v[182:183]
	v_add_f64 v[178:179], v[216:217], v[168:169]
	v_add_f64 v[180:181], v[182:183], v[180:181]
	v_add_f64 v[182:183], v[168:169], -v[216:217]
	v_add_f64 v[168:169], v[156:157], -v[158:159]
	v_add_f64 v[170:171], v[166:167], v[164:165]
	v_add_f64 v[172:173], v[152:153], -v[160:161]
	v_add_f64 v[174:175], v[162:163], v[154:155]
	v_mov_b32_e32 v214, 0x13b
	v_cmp_lt_u16_e64 s[4:5], 44, v228
	v_cndmask_b32_e64 v214, 0, v214, s[4:5]
	v_add_lshl_u32 v241, v205, v214, 4
	ds_write_b128 v241, v[184:187]
	ds_write_b128 v241, v[188:191] offset:720
	ds_write_b128 v241, v[192:195] offset:1440
	;; [unrolled: 1-line block ×6, first 2 shown]
	s_and_saveexec_b64 s[4:5], s[0:1]
	s_cbranch_execz .LBB0_15
; %bb.14:
	v_add_f64 v[154:155], v[154:155], -v[162:163]
	v_add_f64 v[152:153], v[160:161], v[152:153]
	v_add_f64 v[164:165], v[164:165], -v[166:167]
	v_add_f64 v[162:163], v[158:159], v[156:157]
	v_lshlrev_b32_e32 v156, 4, v204
	ds_write_b128 v156, v[148:151] offset:5040
	ds_write_b128 v156, v[176:179] offset:7200
	;; [unrolled: 1-line block ×7, first 2 shown]
.LBB0_15:
	s_or_b64 exec, exec, s[4:5]
	v_mov_b32_e32 v148, s13
	v_addc_co_u32_e64 v190, s[2:3], 0, v148, s[2:3]
	v_add_co_u32_e64 v223, s[2:3], s14, v227
	v_mov_b32_e32 v148, s15
	v_addc_co_u32_e64 v229, s[2:3], 0, v148, s[2:3]
	s_movk_i32 s12, 0x1000
	v_add_co_u32_e64 v188, s[2:3], s12, v223
	v_addc_co_u32_e64 v189, s[2:3], 0, v229, s[2:3]
	s_waitcnt lgkmcnt(0)
	; wave barrier
	s_waitcnt lgkmcnt(0)
	ds_read_b128 v[184:187], v227
	ds_read_b128 v[152:155], v227 offset:5040
	ds_read_b128 v[191:194], v227 offset:1008
	;; [unrolled: 1-line block ×9, first 2 shown]
	global_load_dwordx4 v[148:151], v[188:189], off offset:896
	s_movk_i32 s13, 0x2000
	s_waitcnt vmcnt(0) lgkmcnt(8)
	v_mul_f64 v[211:212], v[154:155], v[150:151]
	v_fma_f64 v[211:212], v[152:153], v[148:149], -v[211:212]
	v_mul_f64 v[152:153], v[152:153], v[150:151]
	v_fma_f64 v[213:214], v[154:155], v[148:149], v[152:153]
	global_load_dwordx4 v[152:155], v[188:189], off offset:1904
	s_waitcnt vmcnt(0) lgkmcnt(6)
	v_mul_f64 v[215:216], v[158:159], v[154:155]
	v_fma_f64 v[215:216], v[156:157], v[152:153], -v[215:216]
	v_mul_f64 v[156:157], v[156:157], v[154:155]
	v_add_f64 v[215:216], v[191:192], -v[215:216]
	v_fma_f64 v[217:218], v[158:159], v[152:153], v[156:157]
	global_load_dwordx4 v[156:159], v[188:189], off offset:2912
	v_fma_f64 v[191:192], v[191:192], 2.0, -v[215:216]
	v_add_f64 v[217:218], v[193:194], -v[217:218]
	v_fma_f64 v[193:194], v[193:194], 2.0, -v[217:218]
	s_waitcnt vmcnt(0) lgkmcnt(4)
	v_mul_f64 v[219:220], v[162:163], v[158:159]
	v_fma_f64 v[219:220], v[160:161], v[156:157], -v[219:220]
	v_mul_f64 v[160:161], v[160:161], v[158:159]
	v_add_f64 v[219:220], v[195:196], -v[219:220]
	v_fma_f64 v[221:222], v[162:163], v[156:157], v[160:161]
	global_load_dwordx4 v[160:163], v[188:189], off offset:3920
	v_fma_f64 v[195:196], v[195:196], 2.0, -v[219:220]
	v_add_f64 v[221:222], v[197:198], -v[221:222]
	v_fma_f64 v[197:198], v[197:198], 2.0, -v[221:222]
	s_waitcnt vmcnt(0) lgkmcnt(2)
	v_mul_f64 v[188:189], v[166:167], v[162:163]
	v_fma_f64 v[188:189], v[164:165], v[160:161], -v[188:189]
	v_mul_f64 v[164:165], v[164:165], v[162:163]
	v_fma_f64 v[244:245], v[166:167], v[160:161], v[164:165]
	v_add_co_u32_e64 v164, s[2:3], s13, v223
	v_addc_co_u32_e64 v165, s[2:3], 0, v229, s[2:3]
	global_load_dwordx4 v[164:167], v[164:165], off offset:832
	s_movk_i32 s2, 0x2760
	v_add_f64 v[244:245], v[201:202], -v[244:245]
	v_fma_f64 v[201:202], v[201:202], 2.0, -v[244:245]
	s_waitcnt vmcnt(0) lgkmcnt(0)
	v_mul_f64 v[242:243], v[209:210], v[166:167]
	v_fma_f64 v[246:247], v[207:208], v[164:165], -v[242:243]
	v_mul_f64 v[207:208], v[207:208], v[166:167]
	v_add_f64 v[242:243], v[199:200], -v[188:189]
	v_add_co_u32_e64 v188, s[2:3], s2, v224
	v_addc_co_u32_e64 v189, s[2:3], 0, v190, s[2:3]
	v_fma_f64 v[248:249], v[209:210], v[164:165], v[207:208]
	v_add_f64 v[207:208], v[184:185], -v[211:212]
	v_add_f64 v[209:210], v[186:187], -v[213:214]
	v_fma_f64 v[199:200], v[199:200], 2.0, -v[242:243]
	v_fma_f64 v[211:212], v[184:185], 2.0, -v[207:208]
	;; [unrolled: 1-line block ×3, first 2 shown]
	v_add_f64 v[184:185], v[203:204], -v[246:247]
	v_add_f64 v[186:187], v[205:206], -v[248:249]
	v_fma_f64 v[203:204], v[203:204], 2.0, -v[184:185]
	v_fma_f64 v[205:206], v[205:206], 2.0, -v[186:187]
	ds_write_b128 v227, v[211:214]
	ds_write_b128 v227, v[207:210] offset:5040
	ds_write_b128 v227, v[191:194] offset:1008
	ds_write_b128 v227, v[215:218] offset:6048
	ds_write_b128 v227, v[195:198] offset:2016
	ds_write_b128 v227, v[219:222] offset:7056
	ds_write_b128 v227, v[199:202] offset:3024
	ds_write_b128 v227, v[242:245] offset:8064
	ds_write_b128 v227, v[203:206] offset:4032
	ds_write_b128 v227, v[184:187] offset:9072
	v_add_co_u32_e64 v195, s[2:3], s13, v224
	v_addc_co_u32_e64 v196, s[2:3], 0, v190, s[2:3]
	s_waitcnt lgkmcnt(0)
	; wave barrier
	s_waitcnt lgkmcnt(0)
	global_load_dwordx4 v[195:198], v[195:196], off offset:1888
	ds_read_b128 v[191:194], v227
	s_movk_i32 s2, 0x4000
	v_add_co_u32_e64 v203, s[2:3], s2, v224
	v_addc_co_u32_e64 v204, s[2:3], 0, v190, s[2:3]
	s_movk_i32 s2, 0x3000
	v_add_co_u32_e64 v205, s[2:3], s2, v224
	v_addc_co_u32_e64 v206, s[2:3], 0, v190, s[2:3]
	s_waitcnt vmcnt(0) lgkmcnt(0)
	v_mul_f64 v[199:200], v[193:194], v[197:198]
	v_fma_f64 v[199:200], v[191:192], v[195:196], -v[199:200]
	v_mul_f64 v[191:192], v[191:192], v[197:198]
	v_fma_f64 v[201:202], v[193:194], v[195:196], v[191:192]
	global_load_dwordx4 v[195:198], v[188:189], off offset:3360
	ds_read_b128 v[191:194], v227 offset:3360
	ds_write_b128 v227, v[199:202]
	s_waitcnt vmcnt(0) lgkmcnt(1)
	v_mul_f64 v[199:200], v[193:194], v[197:198]
	v_fma_f64 v[199:200], v[191:192], v[195:196], -v[199:200]
	v_mul_f64 v[191:192], v[191:192], v[197:198]
	v_fma_f64 v[201:202], v[193:194], v[195:196], v[191:192]
	global_load_dwordx4 v[195:198], v[203:204], off offset:416
	ds_read_b128 v[191:194], v227 offset:6720
	ds_write_b128 v227, v[199:202] offset:3360
	s_waitcnt vmcnt(0) lgkmcnt(1)
	v_mul_f64 v[199:200], v[193:194], v[197:198]
	v_fma_f64 v[199:200], v[191:192], v[195:196], -v[199:200]
	v_mul_f64 v[191:192], v[191:192], v[197:198]
	v_fma_f64 v[201:202], v[193:194], v[195:196], v[191:192]
	global_load_dwordx4 v[195:198], v[188:189], off offset:1008
	ds_read_b128 v[191:194], v227 offset:1008
	ds_write_b128 v227, v[199:202] offset:6720
	;; [unrolled: 8-line block ×7, first 2 shown]
	s_waitcnt vmcnt(0) lgkmcnt(1)
	v_mul_f64 v[198:199], v[192:193], v[196:197]
	v_fma_f64 v[198:199], v[190:191], v[194:195], -v[198:199]
	v_mul_f64 v[190:191], v[190:191], v[196:197]
	v_fma_f64 v[200:201], v[192:193], v[194:195], v[190:191]
	ds_write_b128 v227, v[198:201] offset:8736
	s_and_saveexec_b64 s[4:5], vcc
	s_cbranch_execz .LBB0_17
; %bb.16:
	v_add_co_u32_e64 v194, s[2:3], s12, v188
	v_addc_co_u32_e64 v195, s[2:3], 0, v189, s[2:3]
	global_load_dwordx4 v[190:193], v[188:189], off offset:3024
	s_nop 0
	global_load_dwordx4 v[194:197], v[194:195], off offset:2288
	v_add_co_u32_e64 v188, s[2:3], s13, v188
	v_addc_co_u32_e64 v189, s[2:3], 0, v189, s[2:3]
	global_load_dwordx4 v[198:201], v[188:189], off offset:1552
	ds_read_b128 v[202:205], v227 offset:3024
	ds_read_b128 v[206:209], v227 offset:6384
	;; [unrolled: 1-line block ×3, first 2 shown]
	s_waitcnt vmcnt(2) lgkmcnt(2)
	v_mul_f64 v[188:189], v[204:205], v[192:193]
	v_mul_f64 v[192:193], v[202:203], v[192:193]
	s_waitcnt vmcnt(1) lgkmcnt(1)
	v_mul_f64 v[214:215], v[208:209], v[196:197]
	v_mul_f64 v[196:197], v[206:207], v[196:197]
	;; [unrolled: 3-line block ×3, first 2 shown]
	v_fma_f64 v[188:189], v[202:203], v[190:191], -v[188:189]
	v_fma_f64 v[190:191], v[204:205], v[190:191], v[192:193]
	v_fma_f64 v[192:193], v[206:207], v[194:195], -v[214:215]
	v_fma_f64 v[194:195], v[208:209], v[194:195], v[196:197]
	;; [unrolled: 2-line block ×3, first 2 shown]
	ds_write_b128 v227, v[188:191] offset:3024
	ds_write_b128 v227, v[192:195] offset:6384
	;; [unrolled: 1-line block ×3, first 2 shown]
.LBB0_17:
	s_or_b64 exec, exec, s[4:5]
	s_waitcnt lgkmcnt(0)
	; wave barrier
	s_waitcnt lgkmcnt(0)
	ds_read_b128 v[212:215], v227
	ds_read_b128 v[204:207], v227 offset:1008
	ds_read_b128 v[216:219], v227 offset:6720
	;; [unrolled: 1-line block ×8, first 2 shown]
	s_and_saveexec_b64 s[2:3], vcc
	s_cbranch_execz .LBB0_19
; %bb.18:
	ds_read_b128 v[184:187], v227 offset:3024
	ds_read_b128 v[176:179], v227 offset:6384
	;; [unrolled: 1-line block ×3, first 2 shown]
.LBB0_19:
	s_or_b64 exec, exec, s[2:3]
	s_waitcnt lgkmcnt(4)
	v_add_f64 v[242:243], v[220:221], v[216:217]
	v_add_f64 v[244:245], v[212:213], v[220:221]
	v_add_f64 v[246:247], v[222:223], -v[218:219]
	v_add_f64 v[248:249], v[222:223], v[218:219]
	s_mov_b32 s2, 0xe8584caa
	s_mov_b32 s3, 0xbfebb67a
	;; [unrolled: 1-line block ×4, first 2 shown]
	v_fma_f64 v[242:243], v[242:243], -0.5, v[212:213]
	v_add_f64 v[222:223], v[214:215], v[222:223]
	v_add_f64 v[250:251], v[220:221], -v[216:217]
	s_waitcnt lgkmcnt(2)
	v_add_f64 v[252:253], v[208:209], v[200:201]
	v_add_f64 v[212:213], v[244:245], v[216:217]
	v_fma_f64 v[244:245], v[248:249], -0.5, v[214:215]
	s_waitcnt lgkmcnt(0)
	v_add_f64 v[254:255], v[196:197], v[188:189]
	v_add_f64 v[229:230], v[176:177], -v[180:181]
	v_fma_f64 v[216:217], v[246:247], s[2:3], v[242:243]
	v_fma_f64 v[220:221], v[246:247], s[4:5], v[242:243]
	v_add_f64 v[242:243], v[210:211], v[202:203]
	v_add_f64 v[246:247], v[204:205], v[208:209]
	;; [unrolled: 1-line block ×3, first 2 shown]
	v_fma_f64 v[248:249], v[252:253], -0.5, v[204:205]
	v_add_f64 v[252:253], v[210:211], -v[202:203]
	v_fma_f64 v[218:219], v[250:251], s[4:5], v[244:245]
	v_fma_f64 v[222:223], v[250:251], s[2:3], v[244:245]
	v_add_f64 v[210:211], v[206:207], v[210:211]
	v_fma_f64 v[242:243], v[242:243], -0.5, v[206:207]
	v_add_f64 v[244:245], v[208:209], -v[200:201]
	v_add_f64 v[200:201], v[246:247], v[200:201]
	v_add_f64 v[246:247], v[192:193], v[196:197]
	v_fma_f64 v[250:251], v[254:255], -0.5, v[192:193]
	v_add_f64 v[254:255], v[198:199], -v[190:191]
	v_fma_f64 v[204:205], v[252:253], s[2:3], v[248:249]
	v_fma_f64 v[208:209], v[252:253], s[4:5], v[248:249]
	v_add_f64 v[202:203], v[210:211], v[202:203]
	v_fma_f64 v[206:207], v[244:245], s[4:5], v[242:243]
	v_add_f64 v[248:249], v[198:199], v[190:191]
	;; [unrolled: 2-line block ×3, first 2 shown]
	v_add_f64 v[244:245], v[176:177], v[180:181]
	v_fma_f64 v[242:243], v[254:255], s[2:3], v[250:251]
	v_fma_f64 v[246:247], v[254:255], s[4:5], v[250:251]
	v_add_f64 v[250:251], v[178:179], v[182:183]
	v_add_f64 v[198:199], v[194:195], v[198:199]
	v_fma_f64 v[248:249], v[248:249], -0.5, v[194:195]
	v_add_f64 v[188:189], v[196:197], -v[188:189]
	v_add_f64 v[196:197], v[184:185], v[176:177]
	v_fma_f64 v[252:253], v[244:245], -0.5, v[184:185]
	v_add_f64 v[254:255], v[178:179], -v[182:183]
	v_add_f64 v[178:179], v[186:187], v[178:179]
	v_fma_f64 v[250:251], v[250:251], -0.5, v[186:187]
	v_add_f64 v[194:195], v[198:199], v[190:191]
	v_fma_f64 v[244:245], v[188:189], s[4:5], v[248:249]
	v_fma_f64 v[248:249], v[188:189], s[2:3], v[248:249]
	v_add_f64 v[176:177], v[196:197], v[180:181]
	v_fma_f64 v[184:185], v[254:255], s[2:3], v[252:253]
	v_fma_f64 v[188:189], v[254:255], s[4:5], v[252:253]
	;; [unrolled: 3-line block ×3, first 2 shown]
	; wave barrier
	ds_write_b128 v231, v[212:215]
	ds_write_b128 v231, v[216:219] offset:16
	ds_write_b128 v231, v[220:223] offset:32
	ds_write_b128 v232, v[200:203]
	ds_write_b128 v232, v[204:207] offset:16
	ds_write_b128 v232, v[208:211] offset:32
	;; [unrolled: 3-line block ×3, first 2 shown]
	s_and_saveexec_b64 s[2:3], vcc
	s_cbranch_execz .LBB0_21
; %bb.20:
	buffer_load_dword v180, off, s[36:39], 0 offset:4 ; 4-byte Folded Reload
	s_waitcnt vmcnt(0)
	v_lshlrev_b32_e32 v180, 4, v180
	ds_write_b128 v180, v[176:179]
	ds_write_b128 v180, v[184:187] offset:16
	ds_write_b128 v180, v[188:191] offset:32
.LBB0_21:
	s_or_b64 exec, exec, s[2:3]
	s_waitcnt lgkmcnt(0)
	; wave barrier
	s_waitcnt lgkmcnt(0)
	ds_read_b128 v[196:199], v227
	ds_read_b128 v[192:195], v227 offset:1008
	ds_read_b128 v[212:215], v227 offset:6720
	;; [unrolled: 1-line block ×8, first 2 shown]
	s_and_saveexec_b64 s[2:3], vcc
	s_cbranch_execz .LBB0_23
; %bb.22:
	ds_read_b128 v[176:179], v227 offset:3024
	ds_read_b128 v[184:187], v227 offset:6384
	;; [unrolled: 1-line block ×3, first 2 shown]
.LBB0_23:
	s_or_b64 exec, exec, s[2:3]
	s_waitcnt lgkmcnt(4)
	v_mul_f64 v[229:230], v[42:43], v[222:223]
	v_mul_f64 v[42:43], v[42:43], v[220:221]
	;; [unrolled: 1-line block ×4, first 2 shown]
	s_waitcnt lgkmcnt(2)
	v_mul_f64 v[242:243], v[50:51], v[218:219]
	v_mul_f64 v[50:51], v[50:51], v[216:217]
	s_mov_b32 s2, 0xe8584caa
	s_mov_b32 s3, 0xbfebb67a
	v_fma_f64 v[220:221], v[40:41], v[220:221], v[229:230]
	v_fma_f64 v[40:41], v[40:41], v[222:223], -v[42:43]
	v_fma_f64 v[42:43], v[36:37], v[212:213], v[231:232]
	v_mul_f64 v[212:213], v[46:47], v[206:207]
	v_mul_f64 v[46:47], v[46:47], v[204:205]
	v_fma_f64 v[36:37], v[36:37], v[214:215], -v[38:39]
	v_fma_f64 v[214:215], v[48:49], v[216:217], v[242:243]
	v_fma_f64 v[216:217], v[48:49], v[218:219], -v[50:51]
	s_waitcnt lgkmcnt(0)
	v_mul_f64 v[48:49], v[54:55], v[202:203]
	v_mul_f64 v[222:223], v[58:59], v[210:211]
	v_mul_f64 v[38:39], v[58:59], v[208:209]
	v_fma_f64 v[204:205], v[44:45], v[204:205], v[212:213]
	v_fma_f64 v[206:207], v[44:45], v[206:207], -v[46:47]
	v_mul_f64 v[44:45], v[54:55], v[200:201]
	v_mul_f64 v[46:47], v[66:67], v[186:187]
	;; [unrolled: 1-line block ×3, first 2 shown]
	v_add_f64 v[50:51], v[220:221], v[42:43]
	v_fma_f64 v[200:201], v[52:53], v[200:201], v[48:49]
	v_mul_f64 v[48:49], v[66:67], v[184:185]
	v_fma_f64 v[208:209], v[56:57], v[208:209], v[222:223]
	v_fma_f64 v[38:39], v[56:57], v[210:211], -v[38:39]
	v_fma_f64 v[202:203], v[52:53], v[202:203], -v[44:45]
	v_add_f64 v[52:53], v[196:197], v[220:221]
	v_fma_f64 v[44:45], v[64:65], v[184:185], v[46:47]
	v_fma_f64 v[46:47], v[60:61], v[188:189], v[54:55]
	v_add_f64 v[54:55], v[40:41], v[36:37]
	v_mul_f64 v[56:57], v[62:63], v[188:189]
	v_fma_f64 v[58:59], v[50:51], -0.5, v[196:197]
	v_add_f64 v[62:63], v[40:41], -v[36:37]
	v_fma_f64 v[50:51], v[64:65], v[186:187], -v[48:49]
	v_add_f64 v[52:53], v[52:53], v[42:43]
	v_add_f64 v[64:65], v[214:215], v[204:205]
	;; [unrolled: 1-line block ×3, first 2 shown]
	v_fma_f64 v[66:67], v[54:55], -0.5, v[198:199]
	v_add_f64 v[42:43], v[220:221], -v[42:43]
	v_add_f64 v[184:185], v[216:217], v[206:207]
	s_mov_b32 s4, s2
	v_fma_f64 v[48:49], v[60:61], v[190:191], -v[56:57]
	v_fma_f64 v[56:57], v[62:63], s[2:3], v[58:59]
	v_fma_f64 v[60:61], v[62:63], s[4:5], v[58:59]
	v_add_f64 v[186:187], v[192:193], v[214:215]
	v_fma_f64 v[188:189], v[64:65], -0.5, v[192:193]
	v_add_f64 v[190:191], v[216:217], -v[206:207]
	v_add_f64 v[54:55], v[40:41], v[36:37]
	v_fma_f64 v[58:59], v[42:43], s[4:5], v[66:67]
	v_add_f64 v[36:37], v[194:195], v[216:217]
	v_fma_f64 v[40:41], v[184:185], -0.5, v[194:195]
	v_add_f64 v[192:193], v[214:215], -v[204:205]
	v_fma_f64 v[62:63], v[42:43], s[2:3], v[66:67]
	v_add_f64 v[42:43], v[180:181], v[208:209]
	v_add_f64 v[64:65], v[186:187], v[204:205]
	v_fma_f64 v[184:185], v[190:191], s[2:3], v[188:189]
	v_fma_f64 v[188:189], v[190:191], s[4:5], v[188:189]
	v_add_f64 v[194:195], v[208:209], v[200:201]
	v_add_f64 v[66:67], v[36:37], v[206:207]
	v_fma_f64 v[186:187], v[192:193], s[4:5], v[40:41]
	v_add_f64 v[36:37], v[38:39], v[202:203]
	v_fma_f64 v[190:191], v[192:193], s[2:3], v[40:41]
	v_add_f64 v[40:41], v[44:45], v[46:47]
	v_add_f64 v[192:193], v[42:43], v[200:201]
	;; [unrolled: 1-line block ×3, first 2 shown]
	v_fma_f64 v[194:195], v[194:195], -0.5, v[180:181]
	v_add_f64 v[196:197], v[38:39], -v[202:203]
	v_add_f64 v[38:39], v[182:183], v[38:39]
	v_fma_f64 v[36:37], v[36:37], -0.5, v[182:183]
	v_add_f64 v[198:199], v[208:209], -v[200:201]
	v_fma_f64 v[40:41], v[40:41], -0.5, v[176:177]
	v_add_f64 v[200:201], v[50:51], -v[48:49]
	;; [unrolled: 2-line block ×3, first 2 shown]
	v_fma_f64 v[180:181], v[196:197], s[2:3], v[194:195]
	v_fma_f64 v[196:197], v[196:197], s[4:5], v[194:195]
	v_add_f64 v[194:195], v[38:39], v[202:203]
	v_fma_f64 v[182:183], v[198:199], s[4:5], v[36:37]
	v_fma_f64 v[198:199], v[198:199], s[2:3], v[36:37]
	v_fma_f64 v[36:37], v[200:201], s[2:3], v[40:41]
	v_fma_f64 v[40:41], v[200:201], s[4:5], v[40:41]
	v_fma_f64 v[38:39], v[204:205], s[4:5], v[42:43]
	v_fma_f64 v[42:43], v[204:205], s[2:3], v[42:43]
	s_waitcnt lgkmcnt(0)
	; wave barrier
	ds_write_b128 v235, v[52:55]
	ds_write_b128 v235, v[56:59] offset:48
	ds_write_b128 v235, v[60:63] offset:96
	ds_write_b128 v236, v[64:67]
	ds_write_b128 v236, v[184:187] offset:48
	ds_write_b128 v236, v[188:191] offset:96
	;; [unrolled: 3-line block ×3, first 2 shown]
	s_and_saveexec_b64 s[2:3], vcc
	s_cbranch_execz .LBB0_25
; %bb.24:
	v_add_f64 v[44:45], v[176:177], v[44:45]
	v_add_f64 v[50:51], v[178:179], v[50:51]
	;; [unrolled: 1-line block ×3, first 2 shown]
	buffer_load_dword v44, off, s[36:39], 0 ; 4-byte Folded Reload
	v_add_f64 v[48:49], v[50:51], v[48:49]
	s_waitcnt vmcnt(0)
	v_add_lshl_u32 v44, v44, v234, 4
	ds_write_b128 v44, v[36:39] offset:48
	ds_write_b128 v44, v[46:49]
	ds_write_b128 v44, v[40:43] offset:96
.LBB0_25:
	s_or_b64 exec, exec, s[2:3]
	s_waitcnt lgkmcnt(0)
	; wave barrier
	s_waitcnt lgkmcnt(0)
	ds_read_b128 v[44:47], v227
	ds_read_b128 v[48:51], v227 offset:1008
	ds_read_b128 v[52:55], v227 offset:2016
	;; [unrolled: 1-line block ×7, first 2 shown]
	s_waitcnt lgkmcnt(5)
	v_mul_f64 v[192:193], v[110:111], v[54:55]
	v_mul_f64 v[110:111], v[110:111], v[52:53]
	s_waitcnt lgkmcnt(3)
	v_mul_f64 v[194:195], v[98:99], v[62:63]
	v_mul_f64 v[98:99], v[98:99], v[60:61]
	s_waitcnt lgkmcnt(1)
	v_mul_f64 v[196:197], v[106:107], v[178:179]
	ds_read_b128 v[184:187], v227 offset:8064
	ds_read_b128 v[188:191], v227 offset:9072
	v_mul_f64 v[106:107], v[106:107], v[176:177]
	s_mov_b32 s2, 0x134454ff
	v_fma_f64 v[52:53], v[108:109], v[52:53], v[192:193]
	s_waitcnt lgkmcnt(1)
	v_mul_f64 v[192:193], v[94:95], v[186:187]
	v_mul_f64 v[94:95], v[94:95], v[184:185]
	v_fma_f64 v[54:55], v[108:109], v[54:55], -v[110:111]
	v_fma_f64 v[108:109], v[96:97], v[60:61], v[194:195]
	v_fma_f64 v[62:63], v[96:97], v[62:63], -v[98:99]
	v_fma_f64 v[96:97], v[104:105], v[176:177], v[196:197]
	v_fma_f64 v[98:99], v[104:105], v[178:179], -v[106:107]
	v_mul_f64 v[60:61], v[122:123], v[58:59]
	v_fma_f64 v[104:105], v[92:93], v[184:185], v[192:193]
	v_fma_f64 v[94:95], v[92:93], v[186:187], -v[94:95]
	v_mul_f64 v[92:93], v[122:123], v[56:57]
	v_mul_f64 v[106:107], v[118:119], v[66:67]
	v_add_f64 v[110:111], v[44:45], v[52:53]
	v_mul_f64 v[118:119], v[118:119], v[64:65]
	v_add_f64 v[122:123], v[108:109], v[96:97]
	v_fma_f64 v[176:177], v[120:121], v[56:57], v[60:61]
	v_mul_f64 v[56:57], v[114:115], v[182:183]
	v_mul_f64 v[60:61], v[114:115], v[180:181]
	v_fma_f64 v[114:115], v[120:121], v[58:59], -v[92:93]
	v_fma_f64 v[106:107], v[116:117], v[64:65], v[106:107]
	v_add_f64 v[58:59], v[110:111], v[108:109]
	v_fma_f64 v[110:111], v[116:117], v[66:67], -v[118:119]
	v_fma_f64 v[64:65], v[122:123], -0.5, v[44:45]
	v_add_f64 v[66:67], v[54:55], -v[94:95]
	v_add_f64 v[122:123], v[52:53], v[104:105]
	s_mov_b32 s3, 0xbfee6f0e
	v_fma_f64 v[116:117], v[112:113], v[180:181], v[56:57]
	v_fma_f64 v[112:113], v[112:113], v[182:183], -v[60:61]
	s_waitcnt lgkmcnt(0)
	v_mul_f64 v[56:57], v[86:87], v[190:191]
	v_mul_f64 v[60:61], v[86:87], v[188:189]
	v_add_f64 v[58:59], v[58:59], v[96:97]
	v_fma_f64 v[86:87], v[66:67], s[2:3], v[64:65]
	v_add_f64 v[92:93], v[62:63], -v[98:99]
	v_add_f64 v[118:119], v[52:53], -v[108:109]
	;; [unrolled: 1-line block ×3, first 2 shown]
	v_fma_f64 v[44:45], v[122:123], -0.5, v[44:45]
	s_mov_b32 s12, 0x4755a5e
	s_mov_b32 s13, 0xbfe2cf23
	;; [unrolled: 1-line block ×4, first 2 shown]
	v_fma_f64 v[178:179], v[84:85], v[188:189], v[56:57]
	v_fma_f64 v[180:181], v[84:85], v[190:191], -v[60:61]
	v_add_f64 v[56:57], v[58:59], v[104:105]
	v_fma_f64 v[58:59], v[92:93], s[12:13], v[86:87]
	v_add_f64 v[84:85], v[118:119], v[120:121]
	v_fma_f64 v[60:61], v[66:67], s[16:17], v[64:65]
	v_add_f64 v[64:65], v[46:47], v[54:55]
	v_add_f64 v[86:87], v[62:63], v[98:99]
	v_fma_f64 v[118:119], v[92:93], s[16:17], v[44:45]
	v_add_f64 v[120:121], v[108:109], -v[52:53]
	v_add_f64 v[122:123], v[96:97], -v[104:105]
	v_fma_f64 v[44:45], v[92:93], s[2:3], v[44:45]
	s_mov_b32 s15, 0x3fe2cf23
	s_mov_b32 s14, s12
	v_fma_f64 v[182:183], v[92:93], s[14:15], v[60:61]
	v_add_f64 v[92:93], v[64:65], v[62:63]
	v_fma_f64 v[86:87], v[86:87], -0.5, v[46:47]
	v_add_f64 v[52:53], v[52:53], -v[104:105]
	v_fma_f64 v[104:105], v[66:67], s[12:13], v[118:119]
	v_add_f64 v[118:119], v[120:121], v[122:123]
	v_fma_f64 v[44:45], v[66:67], s[14:15], v[44:45]
	v_add_f64 v[66:67], v[54:55], v[94:95]
	s_mov_b32 s4, 0x372fe950
	s_mov_b32 s5, 0x3fd3c6ef
	v_fma_f64 v[60:61], v[84:85], s[4:5], v[58:59]
	v_fma_f64 v[64:65], v[84:85], s[4:5], v[182:183]
	v_add_f64 v[58:59], v[92:93], v[98:99]
	v_fma_f64 v[120:121], v[52:53], s[16:17], v[86:87]
	v_add_f64 v[96:97], v[108:109], -v[96:97]
	v_fma_f64 v[84:85], v[118:119], s[4:5], v[104:105]
	v_add_f64 v[104:105], v[106:107], v[116:117]
	v_add_f64 v[108:109], v[54:55], -v[62:63]
	v_add_f64 v[122:123], v[94:95], -v[98:99]
	v_fma_f64 v[92:93], v[118:119], s[4:5], v[44:45]
	v_fma_f64 v[44:45], v[66:67], -0.5, v[46:47]
	v_add_f64 v[66:67], v[48:49], v[176:177]
	v_fma_f64 v[86:87], v[52:53], s[2:3], v[86:87]
	v_fma_f64 v[46:47], v[96:97], s[14:15], v[120:121]
	v_fma_f64 v[118:119], v[104:105], -0.5, v[48:49]
	v_add_f64 v[120:121], v[114:115], -v[180:181]
	v_add_f64 v[104:105], v[108:109], v[122:123]
	v_add_f64 v[54:55], v[62:63], -v[54:55]
	v_fma_f64 v[108:109], v[96:97], s[2:3], v[44:45]
	v_add_f64 v[62:63], v[98:99], -v[94:95]
	v_fma_f64 v[44:45], v[96:97], s[16:17], v[44:45]
	v_add_f64 v[66:67], v[66:67], v[106:107]
	v_fma_f64 v[86:87], v[96:97], s[12:13], v[86:87]
	v_add_f64 v[96:97], v[176:177], v[178:179]
	v_add_f64 v[58:59], v[58:59], v[94:95]
	v_fma_f64 v[94:95], v[120:121], s[2:3], v[118:119]
	v_add_f64 v[98:99], v[110:111], -v[112:113]
	v_add_f64 v[54:55], v[54:55], v[62:63]
	v_fma_f64 v[44:45], v[52:53], s[12:13], v[44:45]
	v_fma_f64 v[108:109], v[52:53], s[14:15], v[108:109]
	v_add_f64 v[52:53], v[66:67], v[116:117]
	v_fma_f64 v[62:63], v[104:105], s[4:5], v[46:47]
	v_fma_f64 v[46:47], v[96:97], -0.5, v[48:49]
	v_add_f64 v[122:123], v[176:177], -v[106:107]
	v_add_f64 v[182:183], v[178:179], -v[116:117]
	v_fma_f64 v[184:185], v[98:99], s[12:13], v[94:95]
	v_fma_f64 v[94:95], v[54:55], s[4:5], v[44:45]
	v_add_f64 v[44:45], v[110:111], v[112:113]
	v_fma_f64 v[66:67], v[104:105], s[4:5], v[86:87]
	v_fma_f64 v[86:87], v[54:55], s[4:5], v[108:109]
	v_add_f64 v[96:97], v[52:53], v[178:179]
	v_fma_f64 v[52:53], v[98:99], s[16:17], v[46:47]
	v_add_f64 v[108:109], v[114:115], v[180:181]
	v_add_f64 v[122:123], v[122:123], v[182:183]
	v_fma_f64 v[48:49], v[120:121], s[16:17], v[118:119]
	v_add_f64 v[182:183], v[50:51], v[114:115]
	v_add_f64 v[54:55], v[106:107], -v[176:177]
	v_fma_f64 v[44:45], v[44:45], -0.5, v[50:51]
	v_add_f64 v[176:177], v[176:177], -v[178:179]
	v_add_f64 v[118:119], v[116:117], -v[178:179]
	v_fma_f64 v[178:179], v[120:121], s[12:13], v[52:53]
	v_add_f64 v[52:53], v[106:107], -v[116:117]
	v_fma_f64 v[50:51], v[108:109], -0.5, v[50:51]
	v_fma_f64 v[48:49], v[98:99], s[14:15], v[48:49]
	v_fma_f64 v[46:47], v[98:99], s[2:3], v[46:47]
	v_add_f64 v[98:99], v[182:183], v[110:111]
	v_fma_f64 v[106:107], v[176:177], s[16:17], v[44:45]
	v_add_f64 v[108:109], v[114:115], -v[110:111]
	v_add_f64 v[116:117], v[180:181], -v[112:113]
	v_add_f64 v[54:55], v[54:55], v[118:119]
	v_fma_f64 v[118:119], v[52:53], s[2:3], v[50:51]
	v_add_f64 v[110:111], v[110:111], -v[114:115]
	v_add_f64 v[114:115], v[112:113], -v[180:181]
	v_fma_f64 v[44:45], v[176:177], s[2:3], v[44:45]
	v_fma_f64 v[50:51], v[52:53], s[16:17], v[50:51]
	v_add_f64 v[98:99], v[98:99], v[112:113]
	v_fma_f64 v[106:107], v[52:53], s[14:15], v[106:107]
	v_add_f64 v[108:109], v[108:109], v[116:117]
	v_fma_f64 v[46:47], v[120:121], s[14:15], v[46:47]
	v_fma_f64 v[116:117], v[176:177], s[14:15], v[118:119]
	v_add_f64 v[110:111], v[110:111], v[114:115]
	v_fma_f64 v[112:113], v[52:53], s[12:13], v[44:45]
	;; [unrolled: 3-line block ×3, first 2 shown]
	v_fma_f64 v[106:107], v[108:109], s[4:5], v[106:107]
	v_fma_f64 v[52:53], v[122:123], s[4:5], v[48:49]
	;; [unrolled: 1-line block ×7, first 2 shown]
	s_waitcnt lgkmcnt(0)
	; wave barrier
	ds_write_b128 v239, v[56:59]
	ds_write_b128 v239, v[60:63] offset:144
	ds_write_b128 v239, v[84:87] offset:288
	;; [unrolled: 1-line block ×4, first 2 shown]
	ds_write_b128 v240, v[96:99]
	ds_write_b128 v240, v[104:107] offset:144
	ds_write_b128 v240, v[44:47] offset:288
	;; [unrolled: 1-line block ×4, first 2 shown]
	s_waitcnt lgkmcnt(0)
	; wave barrier
	s_waitcnt lgkmcnt(0)
	ds_read_b128 v[56:59], v227
	ds_read_b128 v[104:107], v227 offset:1440
	ds_read_b128 v[96:99], v227 offset:2880
	;; [unrolled: 1-line block ×6, first 2 shown]
	s_and_saveexec_b64 s[2:3], s[0:1]
	s_cbranch_execz .LBB0_27
; %bb.26:
	ds_read_b128 v[44:47], v227 offset:1008
	ds_read_b128 v[48:51], v227 offset:2448
	;; [unrolled: 1-line block ×7, first 2 shown]
.LBB0_27:
	s_or_b64 exec, exec, s[2:3]
	s_waitcnt lgkmcnt(5)
	v_mul_f64 v[108:109], v[138:139], v[106:107]
	s_waitcnt lgkmcnt(4)
	v_mul_f64 v[114:115], v[134:135], v[96:97]
	v_mul_f64 v[110:111], v[138:139], v[104:105]
	;; [unrolled: 1-line block ×3, first 2 shown]
	s_waitcnt lgkmcnt(0)
	v_mul_f64 v[116:117], v[142:143], v[94:95]
	v_mul_f64 v[118:119], v[146:147], v[84:85]
	;; [unrolled: 1-line block ×4, first 2 shown]
	v_fma_f64 v[104:105], v[136:137], v[104:105], v[108:109]
	v_fma_f64 v[98:99], v[132:133], v[98:99], -v[114:115]
	v_mul_f64 v[108:109], v[142:143], v[92:93]
	v_mul_f64 v[114:115], v[146:147], v[86:87]
	v_fma_f64 v[106:107], v[136:137], v[106:107], -v[110:111]
	v_fma_f64 v[96:97], v[132:133], v[96:97], v[112:113]
	v_mul_f64 v[110:111], v[130:131], v[66:67]
	v_mul_f64 v[112:113], v[130:131], v[64:65]
	v_fma_f64 v[92:93], v[140:141], v[92:93], v[116:117]
	v_fma_f64 v[86:87], v[144:145], v[86:87], -v[118:119]
	v_fma_f64 v[94:95], v[140:141], v[94:95], -v[108:109]
	v_fma_f64 v[84:85], v[144:145], v[84:85], v[114:115]
	v_fma_f64 v[60:61], v[124:125], v[60:61], v[120:121]
	v_fma_f64 v[62:63], v[124:125], v[62:63], -v[122:123]
	v_fma_f64 v[64:65], v[128:129], v[64:65], v[110:111]
	v_fma_f64 v[66:67], v[128:129], v[66:67], -v[112:113]
	v_add_f64 v[108:109], v[104:105], v[92:93]
	v_add_f64 v[92:93], v[104:105], -v[92:93]
	v_add_f64 v[110:111], v[106:107], v[94:95]
	v_add_f64 v[94:95], v[106:107], -v[94:95]
	v_add_f64 v[104:105], v[96:97], v[84:85]
	v_add_f64 v[106:107], v[98:99], v[86:87]
	v_add_f64 v[84:85], v[96:97], -v[84:85]
	v_add_f64 v[86:87], v[98:99], -v[86:87]
	v_add_f64 v[96:97], v[64:65], v[60:61]
	v_add_f64 v[98:99], v[66:67], v[62:63]
	v_add_f64 v[60:61], v[60:61], -v[64:65]
	;; [unrolled: 4-line block ×3, first 2 shown]
	v_add_f64 v[114:115], v[106:107], -v[110:111]
	v_add_f64 v[108:109], v[108:109], -v[96:97]
	;; [unrolled: 1-line block ×5, first 2 shown]
	v_add_f64 v[116:117], v[60:61], v[84:85]
	v_add_f64 v[118:119], v[62:63], v[86:87]
	v_add_f64 v[120:121], v[60:61], -v[84:85]
	v_add_f64 v[122:123], v[62:63], -v[86:87]
	v_add_f64 v[64:65], v[96:97], v[64:65]
	v_add_f64 v[66:67], v[98:99], v[66:67]
	v_add_f64 v[84:85], v[84:85], -v[92:93]
	v_add_f64 v[86:87], v[86:87], -v[94:95]
	s_mov_b32 s14, 0x37e14327
	s_mov_b32 s4, 0x36b3c0b5
	;; [unrolled: 1-line block ×7, first 2 shown]
	v_add_f64 v[60:61], v[92:93], -v[60:61]
	v_add_f64 v[62:63], v[94:95], -v[62:63]
	v_add_f64 v[92:93], v[116:117], v[92:93]
	v_add_f64 v[94:95], v[118:119], v[94:95]
	v_add_f64 v[56:57], v[56:57], v[64:65]
	v_add_f64 v[58:59], v[58:59], v[66:67]
	v_mul_f64 v[96:97], v[108:109], s[14:15]
	v_mul_f64 v[98:99], v[110:111], s[14:15]
	;; [unrolled: 1-line block ×6, first 2 shown]
	s_mov_b32 s3, 0xbfebfeb5
	v_mul_f64 v[120:121], v[84:85], s[2:3]
	v_mul_f64 v[122:123], v[86:87], s[2:3]
	s_mov_b32 s24, 0xaaaaaaaa
	s_mov_b32 s12, 0x5476071b
	;; [unrolled: 1-line block ×8, first 2 shown]
	v_fma_f64 v[64:65], v[64:65], s[24:25], v[56:57]
	v_fma_f64 v[66:67], v[66:67], s[24:25], v[58:59]
	;; [unrolled: 1-line block ×4, first 2 shown]
	v_fma_f64 v[108:109], v[112:113], s[12:13], -v[108:109]
	v_fma_f64 v[110:111], v[114:115], s[12:13], -v[110:111]
	;; [unrolled: 1-line block ×4, first 2 shown]
	v_fma_f64 v[112:113], v[60:61], s[26:27], v[116:117]
	v_fma_f64 v[114:115], v[62:63], s[26:27], v[118:119]
	s_mov_b32 s23, 0x3fd5d0dc
	s_mov_b32 s22, s26
	v_fma_f64 v[60:61], v[60:61], s[22:23], -v[120:121]
	v_fma_f64 v[62:63], v[62:63], s[22:23], -v[122:123]
	;; [unrolled: 1-line block ×4, first 2 shown]
	s_mov_b32 s20, 0x37c3f68c
	s_mov_b32 s21, 0xbfdc38aa
	v_add_f64 v[104:105], v[104:105], v[64:65]
	v_add_f64 v[106:107], v[106:107], v[66:67]
	v_fma_f64 v[114:115], v[94:95], s[20:21], v[114:115]
	v_fma_f64 v[112:113], v[92:93], s[20:21], v[112:113]
	v_add_f64 v[96:97], v[96:97], v[64:65]
	v_add_f64 v[98:99], v[98:99], v[66:67]
	v_fma_f64 v[116:117], v[94:95], s[20:21], v[62:63]
	v_fma_f64 v[118:119], v[92:93], s[20:21], v[60:61]
	;; [unrolled: 4-line block ×3, first 2 shown]
	v_add_f64 v[60:61], v[114:115], v[104:105]
	v_add_f64 v[62:63], v[106:107], -v[112:113]
	v_add_f64 v[64:65], v[116:117], v[96:97]
	v_add_f64 v[66:67], v[98:99], -v[118:119]
	v_add_f64 v[96:97], v[96:97], -v[116:117]
	v_add_f64 v[98:99], v[118:119], v[98:99]
	v_add_f64 v[84:85], v[108:109], -v[94:95]
	v_add_f64 v[86:87], v[120:121], v[110:111]
	v_add_f64 v[92:93], v[94:95], v[108:109]
	v_add_f64 v[94:95], v[110:111], -v[120:121]
	v_add_f64 v[104:105], v[104:105], -v[114:115]
	v_add_f64 v[106:107], v[112:113], v[106:107]
	s_waitcnt lgkmcnt(0)
	; wave barrier
	ds_write_b128 v241, v[56:59]
	ds_write_b128 v241, v[60:63] offset:720
	ds_write_b128 v241, v[64:67] offset:1440
	;; [unrolled: 1-line block ×6, first 2 shown]
	s_and_saveexec_b64 s[28:29], s[0:1]
	s_cbranch_execz .LBB0_29
; %bb.28:
	v_mul_f64 v[56:57], v[78:79], v[50:51]
	v_mul_f64 v[60:61], v[70:71], v[42:43]
	;; [unrolled: 1-line block ×9, first 2 shown]
	v_fma_f64 v[60:61], v[68:69], v[40:41], v[60:61]
	v_fma_f64 v[62:63], v[72:73], v[36:37], v[62:63]
	;; [unrolled: 1-line block ×4, first 2 shown]
	v_fma_f64 v[66:67], v[88:89], v[174:175], -v[84:85]
	v_fma_f64 v[50:51], v[76:77], v[50:51], -v[78:79]
	;; [unrolled: 1-line block ×4, first 2 shown]
	v_mul_f64 v[36:37], v[74:75], v[36:37]
	v_mul_f64 v[40:41], v[70:71], v[40:41]
	;; [unrolled: 1-line block ×3, first 2 shown]
	v_fma_f64 v[48:49], v[76:77], v[48:49], v[56:57]
	v_add_f64 v[70:71], v[52:53], -v[64:65]
	v_add_f64 v[74:75], v[50:51], v[66:67]
	v_add_f64 v[52:53], v[52:53], v[64:65]
	;; [unrolled: 1-line block ×3, first 2 shown]
	v_fma_f64 v[36:37], v[72:73], v[38:39], -v[36:37]
	v_fma_f64 v[40:41], v[68:69], v[42:43], -v[40:41]
	v_fma_f64 v[56:57], v[88:89], v[172:173], v[58:59]
	v_add_f64 v[58:59], v[60:61], -v[62:63]
	v_add_f64 v[60:61], v[62:63], v[60:61]
	v_add_f64 v[50:51], v[50:51], -v[66:67]
	v_add_f64 v[68:69], v[76:77], v[74:75]
	v_add_f64 v[72:73], v[36:37], v[40:41]
	v_add_f64 v[42:43], v[48:49], -v[56:57]
	v_add_f64 v[38:39], v[58:59], -v[70:71]
	v_add_f64 v[80:81], v[58:59], v[70:71]
	v_add_f64 v[48:49], v[48:49], v[56:57]
	v_add_f64 v[40:41], v[40:41], -v[36:37]
	v_add_f64 v[64:65], v[72:73], v[68:69]
	v_add_f64 v[56:57], v[42:43], -v[58:59]
	v_mul_f64 v[58:59], v[38:39], s[18:19]
	v_add_f64 v[68:69], v[80:81], v[42:43]
	v_add_f64 v[80:81], v[52:53], v[48:49]
	v_add_f64 v[36:37], v[74:75], -v[72:73]
	v_add_f64 v[42:43], v[70:71], -v[42:43]
	;; [unrolled: 1-line block ×3, first 2 shown]
	v_add_f64 v[38:39], v[46:47], v[64:65]
	v_add_f64 v[46:47], v[54:55], -v[78:79]
	v_add_f64 v[54:55], v[72:73], -v[76:77]
	;; [unrolled: 1-line block ×3, first 2 shown]
	v_add_f64 v[72:73], v[60:61], v[80:81]
	v_mul_f64 v[80:81], v[36:37], s[14:15]
	v_add_f64 v[60:61], v[60:61], -v[52:53]
	v_add_f64 v[74:75], v[76:77], -v[74:75]
	v_fma_f64 v[64:65], v[64:65], s[24:25], v[38:39]
	v_add_f64 v[66:67], v[40:41], -v[46:47]
	v_add_f64 v[40:41], v[40:41], v[46:47]
	v_add_f64 v[46:47], v[46:47], -v[50:51]
	v_add_f64 v[36:37], v[44:45], v[72:73]
	v_mul_f64 v[44:45], v[78:79], s[14:15]
	v_mul_f64 v[82:83], v[54:55], s[4:5]
	v_fma_f64 v[54:55], v[54:55], s[4:5], v[80:81]
	v_mul_f64 v[78:79], v[42:43], s[2:3]
	v_mul_f64 v[66:67], v[66:67], s[18:19]
	v_add_f64 v[48:49], v[52:53], -v[48:49]
	v_mul_f64 v[52:53], v[46:47], s[2:3]
	v_add_f64 v[50:51], v[40:41], v[50:51]
	v_mul_f64 v[40:41], v[60:61], s[4:5]
	v_fma_f64 v[62:63], v[56:57], s[26:27], v[58:59]
	v_fma_f64 v[72:73], v[72:73], s[24:25], v[36:37]
	;; [unrolled: 1-line block ×4, first 2 shown]
	v_add_f64 v[86:87], v[54:55], v[64:65]
	v_fma_f64 v[54:55], v[56:57], s[22:23], -v[78:79]
	v_fma_f64 v[56:57], v[74:75], s[16:17], -v[80:81]
	;; [unrolled: 1-line block ×8, first 2 shown]
	v_fma_f64 v[62:63], v[68:69], s[20:21], v[62:63]
	v_add_f64 v[60:61], v[76:77], v[72:73]
	v_fma_f64 v[76:77], v[50:51], s[20:21], v[84:85]
	v_fma_f64 v[58:59], v[68:69], s[20:21], v[54:55]
	v_add_f64 v[56:57], v[56:57], v[64:65]
	v_add_f64 v[44:45], v[44:45], v[72:73]
	v_fma_f64 v[66:67], v[50:51], s[20:21], v[52:53]
	v_add_f64 v[54:55], v[74:75], v[64:65]
	v_fma_f64 v[64:65], v[68:69], s[20:21], v[42:43]
	;; [unrolled: 2-line block ×3, first 2 shown]
	v_add_f64 v[42:43], v[62:63], v[86:87]
	v_add_f64 v[40:41], v[60:61], -v[76:77]
	v_add_f64 v[62:63], v[86:87], -v[62:63]
	v_add_f64 v[60:61], v[76:77], v[60:61]
	v_add_f64 v[46:47], v[58:59], v[56:57]
	v_add_f64 v[58:59], v[56:57], -v[58:59]
	v_add_f64 v[56:57], v[66:67], v[44:45]
	v_add_f64 v[50:51], v[54:55], -v[64:65]
	;; [unrolled: 2-line block ×4, first 2 shown]
	v_mov_b32_e32 v64, 4
	v_lshlrev_b32_sdwa v64, v64, v238 dst_sel:DWORD dst_unused:UNUSED_PAD src0_sel:DWORD src1_sel:BYTE_0
	ds_write_b128 v64, v[36:39] offset:5040
	ds_write_b128 v64, v[60:63] offset:5760
	ds_write_b128 v64, v[56:59] offset:6480
	ds_write_b128 v64, v[52:55] offset:7200
	ds_write_b128 v64, v[48:51] offset:7920
	ds_write_b128 v64, v[44:47] offset:8640
	ds_write_b128 v64, v[40:43] offset:9360
.LBB0_29:
	s_or_b64 exec, exec, s[28:29]
	s_waitcnt lgkmcnt(0)
	; wave barrier
	s_waitcnt lgkmcnt(0)
	ds_read_b128 v[36:39], v227 offset:5040
	ds_read_b128 v[40:43], v227
	ds_read_b128 v[44:47], v227 offset:1008
	ds_read_b128 v[48:51], v227 offset:6048
	;; [unrolled: 1-line block ×4, first 2 shown]
	s_waitcnt lgkmcnt(5)
	v_mul_f64 v[78:79], v[150:151], v[38:39]
	v_mul_f64 v[80:81], v[150:151], v[36:37]
	s_waitcnt lgkmcnt(2)
	v_mul_f64 v[82:83], v[154:155], v[50:51]
	v_mul_f64 v[84:85], v[154:155], v[48:49]
	ds_read_b128 v[60:63], v227 offset:2016
	ds_read_b128 v[64:67], v227 offset:3024
	;; [unrolled: 1-line block ×4, first 2 shown]
	v_mad_u64_u32 v[76:77], s[0:1], s10, v226, 0
	s_mov_b32 s2, 0x1a01a01a
	v_fma_f64 v[36:37], v[148:149], v[36:37], v[78:79]
	v_fma_f64 v[38:39], v[148:149], v[38:39], -v[80:81]
	s_waitcnt lgkmcnt(5)
	v_mul_f64 v[78:79], v[158:159], v[54:55]
	v_mul_f64 v[80:81], v[158:159], v[52:53]
	v_fma_f64 v[48:49], v[152:153], v[48:49], v[82:83]
	v_fma_f64 v[50:51], v[152:153], v[50:51], -v[84:85]
	s_waitcnt lgkmcnt(1)
	v_mul_f64 v[82:83], v[162:163], v[70:71]
	v_mul_f64 v[84:85], v[162:163], v[68:69]
	s_waitcnt lgkmcnt(0)
	v_mul_f64 v[86:87], v[166:167], v[74:75]
	v_mul_f64 v[88:89], v[166:167], v[72:73]
	v_fma_f64 v[52:53], v[156:157], v[52:53], v[78:79]
	v_fma_f64 v[54:55], v[156:157], v[54:55], -v[80:81]
	v_add_f64 v[36:37], v[40:41], -v[36:37]
	v_add_f64 v[38:39], v[42:43], -v[38:39]
	v_fma_f64 v[68:69], v[160:161], v[68:69], v[82:83]
	v_fma_f64 v[70:71], v[160:161], v[70:71], -v[84:85]
	v_fma_f64 v[72:73], v[164:165], v[72:73], v[86:87]
	v_fma_f64 v[74:75], v[164:165], v[74:75], -v[88:89]
	v_add_f64 v[48:49], v[44:45], -v[48:49]
	v_add_f64 v[50:51], v[46:47], -v[50:51]
	;; [unrolled: 1-line block ×6, first 2 shown]
	v_fma_f64 v[40:41], v[40:41], 2.0, -v[36:37]
	v_fma_f64 v[42:43], v[42:43], 2.0, -v[38:39]
	v_add_f64 v[72:73], v[56:57], -v[72:73]
	v_add_f64 v[74:75], v[58:59], -v[74:75]
	v_fma_f64 v[44:45], v[44:45], 2.0, -v[48:49]
	v_fma_f64 v[46:47], v[46:47], 2.0, -v[50:51]
	;; [unrolled: 1-line block ×8, first 2 shown]
	ds_write_b128 v227, v[40:43]
	ds_write_b128 v227, v[36:39] offset:5040
	ds_write_b128 v227, v[44:47] offset:1008
	;; [unrolled: 1-line block ×9, first 2 shown]
	s_waitcnt lgkmcnt(0)
	; wave barrier
	s_waitcnt lgkmcnt(0)
	ds_read_b128 v[36:39], v227
	ds_read_b128 v[40:43], v227 offset:1008
	v_mov_b32_e32 v44, v77
	s_mov_b32 s3, 0x3f5a01a0
	v_mov_b32_e32 v54, s7
	s_waitcnt lgkmcnt(1)
	v_mul_f64 v[45:46], v[34:35], v[38:39]
	v_mul_f64 v[34:35], v[34:35], v[36:37]
	v_fma_f64 v[36:37], v[32:33], v[36:37], v[45:46]
	v_mad_u64_u32 v[47:48], s[0:1], s11, v226, v[44:45]
	v_mad_u64_u32 v[48:49], s[0:1], s8, v228, 0
	v_fma_f64 v[34:35], v[32:33], v[38:39], -v[34:35]
	v_mov_b32_e32 v77, v47
	v_mov_b32_e32 v32, v49
	v_mad_u64_u32 v[44:45], s[0:1], s9, v228, v[32:33]
	v_mul_f64 v[32:33], v[36:37], s[2:3]
	ds_read_b128 v[36:39], v227 offset:3360
	v_mov_b32_e32 v49, v44
	ds_read_b128 v[44:47], v227 offset:2016
	v_mul_f64 v[34:35], v[34:35], s[2:3]
	v_lshlrev_b64 v[50:51], 4, v[76:77]
	s_waitcnt lgkmcnt(1)
	v_mul_f64 v[52:53], v[2:3], v[38:39]
	v_mul_f64 v[2:3], v[2:3], v[36:37]
	v_add_co_u32_e64 v50, s[0:1], s6, v50
	v_lshlrev_b64 v[48:49], 4, v[48:49]
	v_addc_co_u32_e64 v51, s[0:1], v54, v51, s[0:1]
	v_add_co_u32_e64 v48, s[0:1], v50, v48
	v_fma_f64 v[36:37], v[0:1], v[36:37], v[52:53]
	v_fma_f64 v[38:39], v[0:1], v[38:39], -v[2:3]
	ds_read_b128 v[0:3], v227 offset:6720
	v_addc_co_u32_e64 v49, s[0:1], v51, v49, s[0:1]
	global_store_dwordx4 v[48:49], v[32:35], off
	s_mul_i32 s0, s9, 0xd2
	s_mul_hi_u32 s1, s8, 0xd2
	v_mul_f64 v[32:33], v[36:37], s[2:3]
	v_mul_f64 v[34:35], v[38:39], s[2:3]
	ds_read_b128 v[36:39], v227 offset:7728
	s_waitcnt lgkmcnt(1)
	v_mul_f64 v[50:51], v[30:31], v[2:3]
	v_mul_f64 v[30:31], v[30:31], v[0:1]
	s_add_i32 s1, s1, s0
	s_mul_i32 s0, s8, 0xd2
	s_lshl_b64 s[4:5], s[0:1], 4
	v_mov_b32_e32 v52, s5
	v_fma_f64 v[0:1], v[28:29], v[0:1], v[50:51]
	v_fma_f64 v[2:3], v[28:29], v[2:3], -v[30:31]
	v_mul_f64 v[28:29], v[10:11], v[42:43]
	v_add_co_u32_e64 v30, s[0:1], s4, v48
	v_mul_f64 v[10:11], v[10:11], v[40:41]
	v_addc_co_u32_e64 v31, s[0:1], v49, v52, s[0:1]
	v_mul_f64 v[0:1], v[0:1], s[2:3]
	v_mul_f64 v[2:3], v[2:3], s[2:3]
	v_fma_f64 v[28:29], v[8:9], v[40:41], v[28:29]
	global_store_dwordx4 v[30:31], v[32:35], off
	v_fma_f64 v[10:11], v[8:9], v[42:43], -v[10:11]
	v_add_co_u32_e64 v32, s[0:1], s4, v30
	v_addc_co_u32_e64 v33, s[0:1], v31, v52, s[0:1]
	global_store_dwordx4 v[32:33], v[0:3], off
	ds_read_b128 v[0:3], v227 offset:4368
	v_mul_f64 v[8:9], v[28:29], s[2:3]
	ds_read_b128 v[28:31], v227 offset:5376
	v_mul_f64 v[10:11], v[10:11], s[2:3]
	s_mul_hi_u32 s1, s8, 0xfffffe9b
	s_waitcnt lgkmcnt(1)
	v_mul_f64 v[34:35], v[6:7], v[2:3]
	v_mul_f64 v[6:7], v[6:7], v[0:1]
	s_mul_i32 s0, s9, 0xfffffe9b
	s_sub_i32 s1, s1, s8
	s_add_i32 s1, s1, s0
	s_mul_i32 s0, s8, 0xfffffe9b
	s_lshl_b64 s[6:7], s[0:1], 4
	v_mov_b32_e32 v40, s7
	v_fma_f64 v[0:1], v[4:5], v[0:1], v[34:35]
	v_fma_f64 v[2:3], v[4:5], v[2:3], -v[6:7]
	v_mul_f64 v[4:5], v[18:19], v[38:39]
	v_mul_f64 v[6:7], v[18:19], v[36:37]
	v_add_co_u32_e64 v18, s[0:1], s6, v32
	v_addc_co_u32_e64 v19, s[0:1], v33, v40, s[0:1]
	v_mul_f64 v[0:1], v[0:1], s[2:3]
	v_mul_f64 v[2:3], v[2:3], s[2:3]
	v_fma_f64 v[4:5], v[16:17], v[36:37], v[4:5]
	v_fma_f64 v[6:7], v[16:17], v[38:39], -v[6:7]
	global_store_dwordx4 v[18:19], v[8:11], off
	s_waitcnt lgkmcnt(0)
	v_mul_f64 v[16:17], v[22:23], v[28:29]
	v_mul_f64 v[8:9], v[14:15], v[46:47]
	;; [unrolled: 1-line block ×3, first 2 shown]
	v_add_co_u32_e64 v14, s[0:1], s4, v18
	v_addc_co_u32_e64 v15, s[0:1], v19, v52, s[0:1]
	global_store_dwordx4 v[14:15], v[0:3], off
	v_add_co_u32_e64 v14, s[0:1], s4, v14
	v_mul_f64 v[0:1], v[4:5], s[2:3]
	v_mul_f64 v[2:3], v[6:7], s[2:3]
	ds_read_b128 v[4:7], v227 offset:8736
	v_fma_f64 v[8:9], v[12:13], v[44:45], v[8:9]
	v_fma_f64 v[10:11], v[12:13], v[46:47], -v[10:11]
	v_mul_f64 v[12:13], v[22:23], v[30:31]
	v_addc_co_u32_e64 v15, s[0:1], v15, v52, s[0:1]
	s_waitcnt lgkmcnt(0)
	v_mul_f64 v[18:19], v[26:27], v[6:7]
	v_mul_f64 v[22:23], v[26:27], v[4:5]
	global_store_dwordx4 v[14:15], v[0:3], off
	v_add_co_u32_e64 v14, s[0:1], s6, v14
	v_mul_f64 v[0:1], v[8:9], s[2:3]
	v_mul_f64 v[2:3], v[10:11], s[2:3]
	v_fma_f64 v[8:9], v[20:21], v[28:29], v[12:13]
	v_fma_f64 v[10:11], v[20:21], v[30:31], -v[16:17]
	v_fma_f64 v[12:13], v[24:25], v[4:5], v[18:19]
	v_fma_f64 v[16:17], v[24:25], v[6:7], -v[22:23]
	v_addc_co_u32_e64 v15, s[0:1], v15, v40, s[0:1]
	global_store_dwordx4 v[14:15], v[0:3], off
	v_mul_f64 v[4:5], v[8:9], s[2:3]
	v_mul_f64 v[6:7], v[10:11], s[2:3]
	;; [unrolled: 1-line block ×4, first 2 shown]
	v_add_co_u32_e64 v0, s[0:1], s4, v14
	v_addc_co_u32_e64 v1, s[0:1], v15, v52, s[0:1]
	global_store_dwordx4 v[0:1], v[4:7], off
	v_add_co_u32_e64 v0, s[0:1], s4, v0
	v_addc_co_u32_e64 v1, s[0:1], v1, v52, s[0:1]
	global_store_dwordx4 v[0:1], v[8:11], off
	s_and_b64 exec, exec, vcc
	s_cbranch_execz .LBB0_31
; %bb.30:
	s_movk_i32 s0, 0x1000
	v_add_co_u32_e32 v6, vcc, s0, v224
	v_addc_co_u32_e32 v7, vcc, 0, v225, vcc
	s_movk_i32 s0, 0x2000
	global_load_dwordx4 v[2:5], v[224:225], off offset:3024
	v_add_co_u32_e32 v10, vcc, s0, v224
	global_load_dwordx4 v[6:9], v[6:7], off offset:2288
	v_addc_co_u32_e32 v11, vcc, 0, v225, vcc
	global_load_dwordx4 v[10:13], v[10:11], off offset:1552
	ds_read_b128 v[14:17], v227 offset:3024
	ds_read_b128 v[18:21], v227 offset:6384
	;; [unrolled: 1-line block ×3, first 2 shown]
	v_mov_b32_e32 v32, s7
	v_mov_b32_e32 v33, s5
	s_waitcnt vmcnt(2) lgkmcnt(2)
	v_mul_f64 v[26:27], v[16:17], v[4:5]
	v_mul_f64 v[4:5], v[14:15], v[4:5]
	s_waitcnt vmcnt(1) lgkmcnt(1)
	v_mul_f64 v[28:29], v[20:21], v[8:9]
	v_mul_f64 v[8:9], v[18:19], v[8:9]
	;; [unrolled: 3-line block ×3, first 2 shown]
	v_fma_f64 v[14:15], v[14:15], v[2:3], v[26:27]
	v_fma_f64 v[2:3], v[2:3], v[16:17], -v[4:5]
	v_fma_f64 v[4:5], v[18:19], v[6:7], v[28:29]
	v_fma_f64 v[6:7], v[6:7], v[20:21], -v[8:9]
	;; [unrolled: 2-line block ×3, first 2 shown]
	v_add_co_u32_e32 v12, vcc, s6, v0
	v_addc_co_u32_e32 v13, vcc, v1, v32, vcc
	v_mul_f64 v[0:1], v[14:15], s[2:3]
	v_mul_f64 v[2:3], v[2:3], s[2:3]
	;; [unrolled: 1-line block ×6, first 2 shown]
	v_add_co_u32_e32 v14, vcc, s4, v12
	v_addc_co_u32_e32 v15, vcc, v13, v33, vcc
	v_add_co_u32_e32 v16, vcc, s4, v14
	v_addc_co_u32_e32 v17, vcc, v15, v33, vcc
	global_store_dwordx4 v[12:13], v[0:3], off
	global_store_dwordx4 v[14:15], v[4:7], off
	;; [unrolled: 1-line block ×3, first 2 shown]
.LBB0_31:
	s_endpgm
	.section	.rodata,"a",@progbits
	.p2align	6, 0x0
	.amdhsa_kernel bluestein_single_back_len630_dim1_dp_op_CI_CI
		.amdhsa_group_segment_fixed_size 10080
		.amdhsa_private_segment_fixed_size 12
		.amdhsa_kernarg_size 104
		.amdhsa_user_sgpr_count 6
		.amdhsa_user_sgpr_private_segment_buffer 1
		.amdhsa_user_sgpr_dispatch_ptr 0
		.amdhsa_user_sgpr_queue_ptr 0
		.amdhsa_user_sgpr_kernarg_segment_ptr 1
		.amdhsa_user_sgpr_dispatch_id 0
		.amdhsa_user_sgpr_flat_scratch_init 0
		.amdhsa_user_sgpr_private_segment_size 0
		.amdhsa_uses_dynamic_stack 0
		.amdhsa_system_sgpr_private_segment_wavefront_offset 1
		.amdhsa_system_sgpr_workgroup_id_x 1
		.amdhsa_system_sgpr_workgroup_id_y 0
		.amdhsa_system_sgpr_workgroup_id_z 0
		.amdhsa_system_sgpr_workgroup_info 0
		.amdhsa_system_vgpr_workitem_id 0
		.amdhsa_next_free_vgpr 256
		.amdhsa_next_free_sgpr 40
		.amdhsa_reserve_vcc 1
		.amdhsa_reserve_flat_scratch 0
		.amdhsa_float_round_mode_32 0
		.amdhsa_float_round_mode_16_64 0
		.amdhsa_float_denorm_mode_32 3
		.amdhsa_float_denorm_mode_16_64 3
		.amdhsa_dx10_clamp 1
		.amdhsa_ieee_mode 1
		.amdhsa_fp16_overflow 0
		.amdhsa_exception_fp_ieee_invalid_op 0
		.amdhsa_exception_fp_denorm_src 0
		.amdhsa_exception_fp_ieee_div_zero 0
		.amdhsa_exception_fp_ieee_overflow 0
		.amdhsa_exception_fp_ieee_underflow 0
		.amdhsa_exception_fp_ieee_inexact 0
		.amdhsa_exception_int_div_zero 0
	.end_amdhsa_kernel
	.text
.Lfunc_end0:
	.size	bluestein_single_back_len630_dim1_dp_op_CI_CI, .Lfunc_end0-bluestein_single_back_len630_dim1_dp_op_CI_CI
                                        ; -- End function
	.section	.AMDGPU.csdata,"",@progbits
; Kernel info:
; codeLenInByte = 15620
; NumSgprs: 44
; NumVgprs: 256
; ScratchSize: 12
; MemoryBound: 0
; FloatMode: 240
; IeeeMode: 1
; LDSByteSize: 10080 bytes/workgroup (compile time only)
; SGPRBlocks: 5
; VGPRBlocks: 63
; NumSGPRsForWavesPerEU: 44
; NumVGPRsForWavesPerEU: 256
; Occupancy: 1
; WaveLimiterHint : 1
; COMPUTE_PGM_RSRC2:SCRATCH_EN: 1
; COMPUTE_PGM_RSRC2:USER_SGPR: 6
; COMPUTE_PGM_RSRC2:TRAP_HANDLER: 0
; COMPUTE_PGM_RSRC2:TGID_X_EN: 1
; COMPUTE_PGM_RSRC2:TGID_Y_EN: 0
; COMPUTE_PGM_RSRC2:TGID_Z_EN: 0
; COMPUTE_PGM_RSRC2:TIDIG_COMP_CNT: 0
	.type	__hip_cuid_bc820801ff7636d9,@object ; @__hip_cuid_bc820801ff7636d9
	.section	.bss,"aw",@nobits
	.globl	__hip_cuid_bc820801ff7636d9
__hip_cuid_bc820801ff7636d9:
	.byte	0                               ; 0x0
	.size	__hip_cuid_bc820801ff7636d9, 1

	.ident	"AMD clang version 19.0.0git (https://github.com/RadeonOpenCompute/llvm-project roc-6.4.0 25133 c7fe45cf4b819c5991fe208aaa96edf142730f1d)"
	.section	".note.GNU-stack","",@progbits
	.addrsig
	.addrsig_sym __hip_cuid_bc820801ff7636d9
	.amdgpu_metadata
---
amdhsa.kernels:
  - .args:
      - .actual_access:  read_only
        .address_space:  global
        .offset:         0
        .size:           8
        .value_kind:     global_buffer
      - .actual_access:  read_only
        .address_space:  global
        .offset:         8
        .size:           8
        .value_kind:     global_buffer
      - .actual_access:  read_only
        .address_space:  global
        .offset:         16
        .size:           8
        .value_kind:     global_buffer
      - .actual_access:  read_only
        .address_space:  global
        .offset:         24
        .size:           8
        .value_kind:     global_buffer
      - .actual_access:  read_only
        .address_space:  global
        .offset:         32
        .size:           8
        .value_kind:     global_buffer
      - .offset:         40
        .size:           8
        .value_kind:     by_value
      - .address_space:  global
        .offset:         48
        .size:           8
        .value_kind:     global_buffer
      - .address_space:  global
        .offset:         56
        .size:           8
        .value_kind:     global_buffer
      - .address_space:  global
        .offset:         64
        .size:           8
        .value_kind:     global_buffer
      - .address_space:  global
        .offset:         72
        .size:           8
        .value_kind:     global_buffer
      - .offset:         80
        .size:           4
        .value_kind:     by_value
      - .address_space:  global
        .offset:         88
        .size:           8
        .value_kind:     global_buffer
      - .address_space:  global
        .offset:         96
        .size:           8
        .value_kind:     global_buffer
    .group_segment_fixed_size: 10080
    .kernarg_segment_align: 8
    .kernarg_segment_size: 104
    .language:       OpenCL C
    .language_version:
      - 2
      - 0
    .max_flat_workgroup_size: 63
    .name:           bluestein_single_back_len630_dim1_dp_op_CI_CI
    .private_segment_fixed_size: 12
    .sgpr_count:     44
    .sgpr_spill_count: 0
    .symbol:         bluestein_single_back_len630_dim1_dp_op_CI_CI.kd
    .uniform_work_group_size: 1
    .uses_dynamic_stack: false
    .vgpr_count:     256
    .vgpr_spill_count: 2
    .wavefront_size: 64
amdhsa.target:   amdgcn-amd-amdhsa--gfx906
amdhsa.version:
  - 1
  - 2
...

	.end_amdgpu_metadata
